;; amdgpu-corpus repo=ROCm/rocFFT kind=compiled arch=gfx950 opt=O3
	.text
	.amdgcn_target "amdgcn-amd-amdhsa--gfx950"
	.amdhsa_code_object_version 6
	.protected	fft_rtc_back_len2250_factors_10_3_5_3_5_wgs_90_tpt_90_halfLds_sp_ip_CI_unitstride_sbrr_R2C_dirReg ; -- Begin function fft_rtc_back_len2250_factors_10_3_5_3_5_wgs_90_tpt_90_halfLds_sp_ip_CI_unitstride_sbrr_R2C_dirReg
	.globl	fft_rtc_back_len2250_factors_10_3_5_3_5_wgs_90_tpt_90_halfLds_sp_ip_CI_unitstride_sbrr_R2C_dirReg
	.p2align	8
	.type	fft_rtc_back_len2250_factors_10_3_5_3_5_wgs_90_tpt_90_halfLds_sp_ip_CI_unitstride_sbrr_R2C_dirReg,@function
fft_rtc_back_len2250_factors_10_3_5_3_5_wgs_90_tpt_90_halfLds_sp_ip_CI_unitstride_sbrr_R2C_dirReg: ; @fft_rtc_back_len2250_factors_10_3_5_3_5_wgs_90_tpt_90_halfLds_sp_ip_CI_unitstride_sbrr_R2C_dirReg
; %bb.0:
	s_load_dwordx2 s[4:5], s[0:1], 0x50
	s_load_dwordx4 s[8:11], s[0:1], 0x0
	s_load_dwordx2 s[6:7], s[0:1], 0x18
	v_mul_u32_u24_e32 v1, 0x2d9, v0
	v_add_u32_sdwa v6, s2, v1 dst_sel:DWORD dst_unused:UNUSED_PAD src0_sel:DWORD src1_sel:WORD_1
	v_mov_b32_e32 v4, 0
	s_waitcnt lgkmcnt(0)
	v_cmp_lt_u64_e64 s[2:3], s[10:11], 2
	v_mov_b32_e32 v7, v4
	s_and_b64 vcc, exec, s[2:3]
	v_mov_b64_e32 v[2:3], 0
	s_cbranch_vccnz .LBB0_8
; %bb.1:
	s_load_dwordx2 s[2:3], s[0:1], 0x10
	s_add_u32 s12, s6, 8
	s_addc_u32 s13, s7, 0
	s_mov_b64 s[14:15], 1
	v_mov_b64_e32 v[2:3], 0
	s_waitcnt lgkmcnt(0)
	s_add_u32 s16, s2, 8
	s_addc_u32 s17, s3, 0
.LBB0_2:                                ; =>This Inner Loop Header: Depth=1
	s_load_dwordx2 s[18:19], s[16:17], 0x0
                                        ; implicit-def: $vgpr8_vgpr9
	s_waitcnt lgkmcnt(0)
	v_or_b32_e32 v5, s19, v7
	v_cmp_ne_u64_e32 vcc, 0, v[4:5]
	s_and_saveexec_b64 s[2:3], vcc
	s_xor_b64 s[20:21], exec, s[2:3]
	s_cbranch_execz .LBB0_4
; %bb.3:                                ;   in Loop: Header=BB0_2 Depth=1
	v_cvt_f32_u32_e32 v1, s18
	v_cvt_f32_u32_e32 v5, s19
	s_sub_u32 s2, 0, s18
	s_subb_u32 s3, 0, s19
	v_fmac_f32_e32 v1, 0x4f800000, v5
	v_rcp_f32_e32 v1, v1
	s_nop 0
	v_mul_f32_e32 v1, 0x5f7ffffc, v1
	v_mul_f32_e32 v5, 0x2f800000, v1
	v_trunc_f32_e32 v5, v5
	v_fmac_f32_e32 v1, 0xcf800000, v5
	v_cvt_u32_f32_e32 v5, v5
	v_cvt_u32_f32_e32 v1, v1
	v_mul_lo_u32 v8, s2, v5
	v_mul_hi_u32 v10, s2, v1
	v_mul_lo_u32 v9, s3, v1
	v_add_u32_e32 v10, v10, v8
	v_mul_lo_u32 v12, s2, v1
	v_add_u32_e32 v13, v10, v9
	v_mul_hi_u32 v8, v1, v12
	v_mul_hi_u32 v11, v1, v13
	v_mul_lo_u32 v10, v1, v13
	v_mov_b32_e32 v9, v4
	v_lshl_add_u64 v[8:9], v[8:9], 0, v[10:11]
	v_mul_hi_u32 v11, v5, v12
	v_mul_lo_u32 v12, v5, v12
	v_add_co_u32_e32 v8, vcc, v8, v12
	v_mul_hi_u32 v10, v5, v13
	s_nop 0
	v_addc_co_u32_e32 v8, vcc, v9, v11, vcc
	v_mov_b32_e32 v9, v4
	s_nop 0
	v_addc_co_u32_e32 v11, vcc, 0, v10, vcc
	v_mul_lo_u32 v10, v5, v13
	v_lshl_add_u64 v[8:9], v[8:9], 0, v[10:11]
	v_add_co_u32_e32 v1, vcc, v1, v8
	v_mul_lo_u32 v10, s2, v1
	s_nop 0
	v_addc_co_u32_e32 v5, vcc, v5, v9, vcc
	v_mul_lo_u32 v8, s2, v5
	v_mul_hi_u32 v9, s2, v1
	v_add_u32_e32 v8, v9, v8
	v_mul_lo_u32 v9, s3, v1
	v_add_u32_e32 v12, v8, v9
	v_mul_hi_u32 v14, v5, v10
	v_mul_lo_u32 v15, v5, v10
	v_mul_hi_u32 v9, v1, v12
	v_mul_lo_u32 v8, v1, v12
	v_mul_hi_u32 v10, v1, v10
	v_mov_b32_e32 v11, v4
	v_lshl_add_u64 v[8:9], v[10:11], 0, v[8:9]
	v_add_co_u32_e32 v8, vcc, v8, v15
	v_mul_hi_u32 v13, v5, v12
	s_nop 0
	v_addc_co_u32_e32 v8, vcc, v9, v14, vcc
	v_mul_lo_u32 v10, v5, v12
	s_nop 0
	v_addc_co_u32_e32 v11, vcc, 0, v13, vcc
	v_mov_b32_e32 v9, v4
	v_lshl_add_u64 v[8:9], v[8:9], 0, v[10:11]
	v_add_co_u32_e32 v1, vcc, v1, v8
	v_mul_hi_u32 v10, v6, v1
	s_nop 0
	v_addc_co_u32_e32 v5, vcc, v5, v9, vcc
	v_mad_u64_u32 v[8:9], s[2:3], v6, v5, 0
	v_mov_b32_e32 v11, v4
	v_lshl_add_u64 v[8:9], v[10:11], 0, v[8:9]
	v_mad_u64_u32 v[12:13], s[2:3], v7, v1, 0
	v_add_co_u32_e32 v1, vcc, v8, v12
	v_mad_u64_u32 v[10:11], s[2:3], v7, v5, 0
	s_nop 0
	v_addc_co_u32_e32 v8, vcc, v9, v13, vcc
	v_mov_b32_e32 v9, v4
	s_nop 0
	v_addc_co_u32_e32 v11, vcc, 0, v11, vcc
	v_lshl_add_u64 v[8:9], v[8:9], 0, v[10:11]
	v_mul_lo_u32 v1, s19, v8
	v_mul_lo_u32 v5, s18, v9
	v_mad_u64_u32 v[10:11], s[2:3], s18, v8, 0
	v_add3_u32 v1, v11, v5, v1
	v_sub_u32_e32 v5, v7, v1
	v_mov_b32_e32 v11, s19
	v_sub_co_u32_e32 v14, vcc, v6, v10
	v_lshl_add_u64 v[12:13], v[8:9], 0, 1
	s_nop 0
	v_subb_co_u32_e64 v5, s[2:3], v5, v11, vcc
	v_subrev_co_u32_e64 v10, s[2:3], s18, v14
	v_subb_co_u32_e32 v1, vcc, v7, v1, vcc
	s_nop 0
	v_subbrev_co_u32_e64 v5, s[2:3], 0, v5, s[2:3]
	v_cmp_le_u32_e64 s[2:3], s19, v5
	v_cmp_le_u32_e32 vcc, s19, v1
	s_nop 0
	v_cndmask_b32_e64 v11, 0, -1, s[2:3]
	v_cmp_le_u32_e64 s[2:3], s18, v10
	s_nop 1
	v_cndmask_b32_e64 v10, 0, -1, s[2:3]
	v_cmp_eq_u32_e64 s[2:3], s19, v5
	s_nop 1
	v_cndmask_b32_e64 v5, v11, v10, s[2:3]
	v_lshl_add_u64 v[10:11], v[8:9], 0, 2
	v_cmp_ne_u32_e64 s[2:3], 0, v5
	s_nop 1
	v_cndmask_b32_e64 v5, v13, v11, s[2:3]
	v_cndmask_b32_e64 v11, 0, -1, vcc
	v_cmp_le_u32_e32 vcc, s18, v14
	s_nop 1
	v_cndmask_b32_e64 v13, 0, -1, vcc
	v_cmp_eq_u32_e32 vcc, s19, v1
	s_nop 1
	v_cndmask_b32_e32 v1, v11, v13, vcc
	v_cmp_ne_u32_e32 vcc, 0, v1
	v_cndmask_b32_e64 v1, v12, v10, s[2:3]
	s_nop 0
	v_cndmask_b32_e32 v9, v9, v5, vcc
	v_cndmask_b32_e32 v8, v8, v1, vcc
.LBB0_4:                                ;   in Loop: Header=BB0_2 Depth=1
	s_andn2_saveexec_b64 s[2:3], s[20:21]
	s_cbranch_execz .LBB0_6
; %bb.5:                                ;   in Loop: Header=BB0_2 Depth=1
	v_cvt_f32_u32_e32 v1, s18
	s_sub_i32 s20, 0, s18
	v_rcp_iflag_f32_e32 v1, v1
	s_nop 0
	v_mul_f32_e32 v1, 0x4f7ffffe, v1
	v_cvt_u32_f32_e32 v1, v1
	v_mul_lo_u32 v5, s20, v1
	v_mul_hi_u32 v5, v1, v5
	v_add_u32_e32 v1, v1, v5
	v_mul_hi_u32 v1, v6, v1
	v_mul_lo_u32 v5, v1, s18
	v_sub_u32_e32 v5, v6, v5
	v_add_u32_e32 v8, 1, v1
	v_subrev_u32_e32 v9, s18, v5
	v_cmp_le_u32_e32 vcc, s18, v5
	s_nop 1
	v_cndmask_b32_e32 v5, v5, v9, vcc
	v_cndmask_b32_e32 v1, v1, v8, vcc
	v_add_u32_e32 v8, 1, v1
	v_cmp_le_u32_e32 vcc, s18, v5
	v_mov_b32_e32 v9, v4
	s_nop 0
	v_cndmask_b32_e32 v8, v1, v8, vcc
.LBB0_6:                                ;   in Loop: Header=BB0_2 Depth=1
	s_or_b64 exec, exec, s[2:3]
	v_mad_u64_u32 v[10:11], s[2:3], v8, s18, 0
	s_load_dwordx2 s[2:3], s[12:13], 0x0
	v_mul_lo_u32 v1, v9, s18
	v_mul_lo_u32 v5, v8, s19
	v_add3_u32 v1, v11, v5, v1
	v_sub_co_u32_e32 v5, vcc, v6, v10
	s_add_u32 s14, s14, 1
	s_nop 0
	v_subb_co_u32_e32 v1, vcc, v7, v1, vcc
	s_addc_u32 s15, s15, 0
	s_waitcnt lgkmcnt(0)
	v_mul_lo_u32 v1, s2, v1
	v_mul_lo_u32 v6, s3, v5
	v_mad_u64_u32 v[2:3], s[2:3], s2, v5, v[2:3]
	s_add_u32 s12, s12, 8
	v_add3_u32 v3, v6, v3, v1
	s_addc_u32 s13, s13, 0
	v_mov_b64_e32 v[6:7], s[10:11]
	s_add_u32 s16, s16, 8
	v_cmp_ge_u64_e32 vcc, s[14:15], v[6:7]
	s_addc_u32 s17, s17, 0
	s_cbranch_vccnz .LBB0_9
; %bb.7:                                ;   in Loop: Header=BB0_2 Depth=1
	v_mov_b64_e32 v[6:7], v[8:9]
	s_branch .LBB0_2
.LBB0_8:
	v_mov_b64_e32 v[8:9], v[6:7]
.LBB0_9:
	s_lshl_b64 s[2:3], s[10:11], 3
	s_add_u32 s2, s6, s2
	s_addc_u32 s3, s7, s3
	s_load_dwordx2 s[6:7], s[2:3], 0x0
	s_load_dwordx2 s[10:11], s[0:1], 0x20
	s_mov_b32 s2, 0x2d82d83
                                        ; implicit-def: $vgpr48
                                        ; implicit-def: $vgpr50
	s_waitcnt lgkmcnt(0)
	v_mul_lo_u32 v1, s6, v9
	v_mul_lo_u32 v4, s7, v8
	v_mad_u64_u32 v[2:3], s[0:1], s6, v8, v[2:3]
	v_add3_u32 v3, v4, v3, v1
	v_mul_hi_u32 v1, v0, s2
	v_mul_u32_u24_e32 v1, 0x5a, v1
	v_cmp_gt_u64_e64 s[0:1], s[10:11], v[8:9]
	v_cmp_le_u64_e32 vcc, s[10:11], v[8:9]
	v_sub_u32_e32 v44, v0, v1
	s_and_saveexec_b64 s[2:3], vcc
	s_xor_b64 s[2:3], exec, s[2:3]
; %bb.10:
	v_add_u32_e32 v48, 0x5a, v44
	v_add_u32_e32 v50, 0xb4, v44
; %bb.11:
	s_or_saveexec_b64 s[2:3], s[2:3]
	v_lshl_add_u64 v[46:47], v[2:3], 3, s[4:5]
	v_lshl_add_u32 v72, v44, 3, 0
	s_xor_b64 exec, exec, s[2:3]
	s_cbranch_execz .LBB0_13
; %bb.12:
	v_mov_b32_e32 v45, 0
	v_lshl_add_u64 v[0:1], v[44:45], 3, v[46:47]
	s_movk_i32 s4, 0x1000
	v_add_co_u32_e32 v10, vcc, s4, v0
	s_movk_i32 s4, 0x2000
	s_nop 0
	v_addc_co_u32_e32 v11, vcc, 0, v1, vcc
	global_load_dwordx2 v[2:3], v[0:1], off
	global_load_dwordx2 v[4:5], v[0:1], off offset:720
	global_load_dwordx2 v[6:7], v[0:1], off offset:1440
	;; [unrolled: 1-line block ×11, first 2 shown]
	v_add_co_u32_e32 v10, vcc, s4, v0
	s_movk_i32 s4, 0x3000
	s_nop 0
	v_addc_co_u32_e32 v11, vcc, 0, v1, vcc
	v_add_co_u32_e32 v36, vcc, s4, v0
	global_load_dwordx2 v[28:29], v[10:11], off offset:448
	global_load_dwordx2 v[30:31], v[10:11], off offset:1168
	;; [unrolled: 1-line block ×4, first 2 shown]
	v_addc_co_u32_e32 v37, vcc, 0, v1, vcc
	v_add_co_u32_e32 v0, vcc, 0x4000, v0
	global_load_dwordx2 v[38:39], v[10:11], off offset:3328
	global_load_dwordx2 v[40:41], v[10:11], off offset:4048
	;; [unrolled: 1-line block ×4, first 2 shown]
	v_addc_co_u32_e32 v1, vcc, 0, v1, vcc
	global_load_dwordx2 v[10:11], v[36:37], off offset:2112
	global_load_dwordx2 v[54:55], v[36:37], off offset:2832
	;; [unrolled: 1-line block ×5, first 2 shown]
	v_add_u32_e32 v48, 0x5a, v44
	v_add_u32_e32 v50, 0xb4, v44
	v_add_u32_e32 v0, 0x400, v72
	v_add_u32_e32 v1, 0x800, v72
	v_add_u32_e32 v36, 0x1000, v72
	v_add_u32_e32 v37, 0x1400, v72
	v_add_u32_e32 v45, 0x1800, v72
	v_add_u32_e32 v49, 0x2000, v72
	v_add_u32_e32 v51, 0x2400, v72
	v_add_u32_e32 v62, 0x2800, v72
	v_add_u32_e32 v63, 0x3000, v72
	v_add_u32_e32 v64, 0x3800, v72
	v_add_u32_e32 v65, 0x3c00, v72
	s_waitcnt vmcnt(21)
	ds_write2_b64 v0, v[6:7], v[8:9] offset0:52 offset1:142
	s_waitcnt vmcnt(19)
	ds_write2_b64 v1, v[12:13], v[14:15] offset0:104 offset1:194
	ds_write2_b64 v72, v[2:3], v[4:5] offset1:90
	s_waitcnt vmcnt(17)
	ds_write2_b64 v36, v[16:17], v[18:19] offset0:28 offset1:118
	s_waitcnt vmcnt(15)
	ds_write2_b64 v37, v[20:21], v[22:23] offset0:80 offset1:170
	;; [unrolled: 2-line block ×9, first 2 shown]
	s_waitcnt vmcnt(0)
	ds_write_b64 v72, v[60:61] offset:17280
.LBB0_13:
	s_or_b64 exec, exec, s[2:3]
	v_add_u32_e32 v8, 0xc00, v72
	s_waitcnt lgkmcnt(0)
	s_barrier
	ds_read2_b64 v[4:7], v72 offset1:90
	ds_read2_b64 v[8:11], v8 offset0:66 offset1:156
	v_add_u32_e32 v63, 0x1800, v72
	ds_read2_b64 v[20:23], v63 offset0:132 offset1:222
	v_add_u32_e32 v0, 0x1000, v72
	v_add_u32_e32 v51, 0x2800, v72
	ds_read2_b64 v[0:3], v0 offset0:118 offset1:163
	v_add_u32_e32 v49, 0x3800, v72
	ds_read2_b64 v[12:15], v51 offset0:70 offset1:160
	ds_read2_b64 v[16:19], v49 offset0:8 offset1:98
	s_waitcnt lgkmcnt(4)
	v_pk_add_f32 v[24:25], v[6:7], v[10:11]
	s_mov_b32 s5, 0x3f737871
	s_waitcnt lgkmcnt(3)
	v_pk_add_f32 v[24:25], v[24:25], v[22:23]
	s_mov_b32 s12, s5
	s_waitcnt lgkmcnt(1)
	v_pk_add_f32 v[24:25], v[24:25], v[14:15]
	s_waitcnt lgkmcnt(0)
	v_pk_add_f32 v[56:57], v[8:9], v[16:17] neg_lo:[0,1] neg_hi:[0,1]
	v_pk_add_f32 v[52:53], v[24:25], v[18:19]
	v_pk_add_f32 v[24:25], v[4:5], v[8:9]
	s_mov_b32 s2, 0x3e9e377a
	v_pk_add_f32 v[24:25], v[24:25], v[20:21]
	v_add_u32_e32 v62, 0x2000, v72
	v_pk_add_f32 v[24:25], v[24:25], v[12:13]
	v_pk_add_f32 v[58:59], v[20:21], v[12:13] neg_lo:[0,1] neg_hi:[0,1]
	v_pk_add_f32 v[54:55], v[24:25], v[16:17]
	v_pk_add_f32 v[24:25], v[20:21], v[12:13]
	v_pk_add_f32 v[28:29], v[16:17], v[12:13] neg_lo:[0,1] neg_hi:[0,1]
	v_pk_add_f32 v[74:75], v[12:13], v[16:17] neg_lo:[0,1] neg_hi:[0,1]
	v_pk_add_f32 v[76:77], v[22:23], v[14:15]
	v_pk_add_f32 v[60:61], v[22:23], v[14:15] neg_lo:[0,1] neg_hi:[0,1]
	v_pk_add_f32 v[88:89], v[18:19], v[14:15] neg_lo:[0,1] neg_hi:[0,1]
	;; [unrolled: 1-line block ×3, first 2 shown]
	v_add_u32_e32 v64, 0x2c00, v72
	s_mov_b32 s3, 0x3f167918
	v_pk_fma_f32 v[12:13], v[24:25], 0.5, v[4:5] op_sel_hi:[1,0,1] neg_lo:[1,0,0] neg_hi:[1,0,0]
	v_pk_mul_f32 v[14:15], v[56:57], s[12:13] op_sel_hi:[1,0]
	v_pk_add_f32 v[26:27], v[8:9], v[20:21] neg_lo:[0,1] neg_hi:[0,1]
	v_pk_add_f32 v[68:69], v[8:9], v[16:17]
	v_pk_add_f32 v[70:71], v[20:21], v[8:9] neg_lo:[0,1] neg_hi:[0,1]
	v_pk_add_f32 v[80:81], v[10:11], v[22:23] neg_lo:[0,1] neg_hi:[0,1]
	;; [unrolled: 1-line block ×4, first 2 shown]
	v_pk_add_f32 v[86:87], v[10:11], v[18:19]
	ds_read2_b64 v[8:11], v62 offset0:56 offset1:101
	s_mov_b32 s10, s3
	v_pk_add_f32 v[20:21], v[12:13], v[14:15] op_sel:[0,1] op_sel_hi:[1,0] neg_lo:[0,1] neg_hi:[0,1]
	v_pk_add_f32 v[22:23], v[12:13], v[14:15] op_sel:[0,1] op_sel_hi:[1,0]
	ds_read2_b64 v[12:15], v64 offset0:122 offset1:167
	ds_read2_b64 v[16:19], v49 offset0:188 offset1:233
	v_pk_mul_f32 v[24:25], v[58:59], s[10:11] op_sel_hi:[1,0]
	v_pk_add_f32 v[92:93], v[26:27], v[28:29]
	v_pk_add_f32 v[94:95], v[22:23], v[24:25] op_sel:[0,1] op_sel_hi:[1,0]
	v_pk_add_f32 v[78:79], v[20:21], v[24:25] op_sel:[0,1] op_sel_hi:[1,0] neg_lo:[0,1] neg_hi:[0,1]
	ds_read2_b64 v[20:23], v72 offset0:180 offset1:225
	s_waitcnt lgkmcnt(3)
	v_pk_add_f32 v[24:25], v[2:3], v[10:11] neg_lo:[0,1] neg_hi:[0,1]
	s_waitcnt lgkmcnt(1)
	v_pk_add_f32 v[26:27], v[18:19], v[14:15] neg_lo:[0,1] neg_hi:[0,1]
	v_pk_add_f32 v[98:99], v[2:3], v[18:19] neg_lo:[0,1] neg_hi:[0,1]
	v_pk_add_f32 v[96:97], v[24:25], v[26:27]
	v_pk_add_f32 v[24:25], v[10:11], v[14:15]
	v_pk_mul_f32 v[26:27], v[98:99], s[12:13] op_sel_hi:[1,0]
	s_waitcnt lgkmcnt(0)
	v_pk_fma_f32 v[24:25], v[24:25], 0.5, v[22:23] op_sel_hi:[1,0,1] neg_lo:[1,0,0] neg_hi:[1,0,0]
	v_pk_add_f32 v[100:101], v[10:11], v[14:15] neg_lo:[0,1] neg_hi:[0,1]
	v_pk_add_f32 v[28:29], v[24:25], v[26:27] op_sel:[0,1] op_sel_hi:[1,0]
	v_pk_add_f32 v[24:25], v[24:25], v[26:27] op_sel:[0,1] op_sel_hi:[1,0] neg_lo:[0,1] neg_hi:[0,1]
	v_pk_mul_f32 v[26:27], v[100:101], s[10:11] op_sel_hi:[1,0]
	s_mov_b32 s16, 0x3f4f1bbd
	v_pk_add_f32 v[28:29], v[26:27], v[28:29] op_sel:[1,0] op_sel_hi:[0,1]
	v_pk_add_f32 v[102:103], v[24:25], v[26:27] op_sel:[0,1] op_sel_hi:[1,0] neg_lo:[0,1] neg_hi:[0,1]
	v_pk_fma_f32 v[104:105], v[96:97], s[2:3], v[28:29] op_sel_hi:[1,0,1]
	v_mov_b32_e32 v28, v102
	v_pk_fma_f32 v[24:25], v[96:97], s[2:3], v[28:29] op_sel_hi:[1,0,1]
	v_mov_b32_e32 v110, v78
	v_pk_mul_f32 v[26:27], v[24:25], s[10:11] op_sel_hi:[1,0]
	v_mov_b32_e32 v111, v95
	v_pk_fma_f32 v[106:107], v[24:25], s[16:17], v[26:27] op_sel:[0,0,1] op_sel_hi:[1,0,0] neg_lo:[0,0,1] neg_hi:[0,0,1]
	v_pk_fma_f32 v[24:25], v[24:25], s[16:17], v[26:27] op_sel:[0,0,1] op_sel_hi:[1,0,0]
	s_movk_i32 s4, 0x48
	v_mov_b32_e32 v107, v25
	v_pk_add_f32 v[24:25], v[22:23], v[2:3]
	v_pk_fma_f32 v[110:111], v[92:93], s[2:3], v[110:111] op_sel_hi:[1,0,1]
	v_pk_add_f32 v[24:25], v[24:25], v[10:11]
	v_add_u32_e32 v28, 0x2400, v72
	v_pk_add_f32 v[24:25], v[24:25], v[14:15]
	v_add_u32_e32 v29, 0x4000, v72
	;; [unrolled: 2-line block ×3, first 2 shown]
	v_mad_u32_u24 v78, v44, s4, v72
	v_pk_add_f32 v[112:113], v[54:55], v[108:109]
	v_pk_add_f32 v[114:115], v[110:111], v[106:107]
	v_add_u32_e32 v66, 0x1400, v72
	v_add_u32_e32 v65, 0x3000, v72
	ds_read2_b64 v[24:27], v24 offset0:59 offset1:149
	ds_read2_b64 v[40:43], v28 offset0:63 offset1:153
	;; [unrolled: 1-line block ×5, first 2 shown]
	s_waitcnt lgkmcnt(0)
	s_barrier
	ds_write2_b64 v78, v[112:113], v[114:115] offset1:1
	v_mov_b32_e32 v112, v10
	v_mov_b32_e32 v113, v14
	v_mov_b32_e32 v114, v2
	v_mov_b32_e32 v115, v18
	v_pk_add_f32 v[112:113], v[112:113], v[114:115] neg_lo:[0,1] neg_hi:[0,1]
	v_mov_b32_e32 v14, v3
	v_mov_b32_e32 v10, v113
	v_pk_add_f32 v[112:113], v[112:113], v[10:11]
	v_mov_b32_e32 v10, v11
	v_mov_b32_e32 v11, v15
	;; [unrolled: 1-line block ×3, first 2 shown]
	v_pk_add_f32 v[10:11], v[10:11], v[14:15] neg_lo:[0,1] neg_hi:[0,1]
	v_pk_add_f32 v[2:3], v[2:3], v[18:19]
	v_mov_b32_e32 v14, v11
	v_pk_add_f32 v[10:11], v[10:11], v[14:15]
	v_pk_fma_f32 v[4:5], v[68:69], 0.5, v[4:5] op_sel_hi:[1,0,1] neg_lo:[1,0,0] neg_hi:[1,0,0]
	v_pk_mul_f32 v[14:15], v[58:59], s[12:13] op_sel_hi:[1,0]
	v_mov_b32_e32 v113, v99
	v_mov_b32_e32 v11, v98
	v_fma_f32 v45, -0.5, v2, v22
	v_fma_f32 v67, -0.5, v3, v23
	v_pk_add_f32 v[18:19], v[4:5], v[14:15] op_sel:[0,1] op_sel_hi:[1,0]
	v_pk_add_f32 v[4:5], v[4:5], v[14:15] op_sel:[0,1] op_sel_hi:[1,0] neg_lo:[0,1] neg_hi:[0,1]
	v_pk_mul_f32 v[14:15], v[56:57], s[10:11] op_sel_hi:[1,0]
	v_fmamk_f32 v22, v101, 0x3f737871, v45
	v_fmamk_f32 v23, v100, 0xbf737871, v67
	v_fmac_f32_e32 v67, 0x3f737871, v100
	v_pk_add_f32 v[4:5], v[4:5], v[14:15] op_sel:[0,1] op_sel_hi:[1,0]
	v_pk_add_f32 v[14:15], v[18:19], v[14:15] op_sel:[0,1] op_sel_hi:[1,0] neg_lo:[0,1] neg_hi:[0,1]
	v_pk_mul_f32 v[18:19], v[112:113], s[2:3]
	v_pk_mul_f32 v[10:11], v[10:11], s[2:3]
	v_fmac_f32_e32 v45, 0xbf737871, v101
	v_sub_f32_e32 v56, v22, v19
	v_add_f32_e32 v22, v11, v23
	v_sub_f32_e32 v11, v67, v11
	s_mov_b32 s6, s5
	s_mov_b32 s7, s2
	v_add_f32_e32 v22, v10, v22
	v_add_f32_e32 v19, v19, v45
	;; [unrolled: 1-line block ×3, first 2 shown]
	s_mov_b32 s4, s2
	v_pk_mul_f32 v[22:23], v[22:23], s[6:7] op_sel_hi:[0,1]
	v_add_f32_e32 v56, v18, v56
	v_add_f32_e32 v18, v18, v19
	s_mov_b32 s14, 0xbe9e377a
	s_mov_b32 s15, s5
	v_pk_mul_f32 v[10:11], v[10:11], s[6:7] op_sel_hi:[0,1]
	v_pk_add_f32 v[2:3], v[70:71], v[74:75]
	v_pk_fma_f32 v[58:59], v[56:57], s[4:5], v[22:23] neg_lo:[0,0,1] neg_hi:[0,0,1]
	v_pk_fma_f32 v[22:23], v[56:57], s[4:5], v[22:23] op_sel_hi:[0,1,1]
	v_pk_fma_f32 v[10:11], v[18:19], s[14:15], v[10:11] op_sel_hi:[0,1,1] neg_lo:[0,0,1] neg_hi:[0,0,1]
	v_mov_b32_e32 v18, v14
	v_mov_b32_e32 v19, v5
	;; [unrolled: 1-line block ×4, first 2 shown]
	v_pk_fma_f32 v[14:15], v[2:3], s[2:3], v[18:19] op_sel_hi:[1,0,1]
	v_pk_fma_f32 v[2:3], v[2:3], s[2:3], v[4:5] op_sel_hi:[1,0,1]
	v_pk_add_f32 v[4:5], v[14:15], v[58:59]
	v_pk_add_f32 v[18:19], v[2:3], v[10:11]
	ds_write2_b64 v78, v[4:5], v[18:19] offset0:2 offset1:3
	v_pk_fma_f32 v[4:5], v[96:97], s[2:3], v[102:103] op_sel_hi:[1,0,1]
	s_mov_b32 s20, s3
	s_mov_b32 s21, s16
	v_mov_b32_e32 v95, v79
	s_mov_b32 s18, 0xbf4f1bbd
	s_mov_b32 s19, s3
	v_pk_mul_f32 v[4:5], v[4:5], s[20:21] op_sel:[1,0]
	v_pk_fma_f32 v[18:19], v[92:93], s[2:3], v[94:95] op_sel_hi:[1,0,1]
	v_pk_fma_f32 v[4:5], v[104:105], s[18:19], v[4:5] op_sel_hi:[0,1,1] neg_lo:[0,0,1] neg_hi:[0,0,1]
	v_pk_add_f32 v[22:23], v[54:55], v[108:109] neg_lo:[0,1] neg_hi:[0,1]
	v_pk_add_f32 v[54:55], v[18:19], v[4:5]
	v_pk_add_f32 v[2:3], v[2:3], v[10:11] neg_lo:[0,1] neg_hi:[0,1]
	v_pk_add_f32 v[4:5], v[18:19], v[4:5] neg_lo:[0,1] neg_hi:[0,1]
	ds_write2_b64 v78, v[54:55], v[22:23] offset0:4 offset1:5
	v_pk_add_f32 v[22:23], v[110:111], v[106:107] neg_lo:[0,1] neg_hi:[0,1]
	v_pk_add_f32 v[14:15], v[14:15], v[58:59] neg_lo:[0,1] neg_hi:[0,1]
	ds_write2_b64 v78, v[2:3], v[4:5] offset0:8 offset1:9
	v_pk_fma_f32 v[4:5], v[76:77], 0.5, v[6:7] op_sel_hi:[1,0,1] neg_lo:[1,0,0] neg_hi:[1,0,0]
	v_pk_mul_f32 v[10:11], v[84:85], s[12:13] op_sel_hi:[1,0]
	ds_write2_b64 v78, v[22:23], v[14:15] offset0:6 offset1:7
	v_pk_add_f32 v[14:15], v[4:5], v[10:11] op_sel:[0,1] op_sel_hi:[1,0] neg_lo:[0,1] neg_hi:[0,1]
	v_pk_add_f32 v[4:5], v[4:5], v[10:11] op_sel:[0,1] op_sel_hi:[1,0]
	v_pk_mul_f32 v[10:11], v[60:61], s[10:11] op_sel_hi:[1,0]
	v_pk_add_f32 v[18:19], v[28:29], v[32:33] neg_lo:[0,1] neg_hi:[0,1]
	v_pk_add_f32 v[4:5], v[4:5], v[10:11] op_sel:[0,1] op_sel_hi:[1,0]
	v_pk_add_f32 v[10:11], v[14:15], v[10:11] op_sel:[0,1] op_sel_hi:[1,0] neg_lo:[0,1] neg_hi:[0,1]
	v_pk_add_f32 v[14:15], v[36:37], v[40:41] neg_lo:[0,1] neg_hi:[0,1]
	v_pk_add_f32 v[22:23], v[36:37], v[28:29] neg_lo:[0,1] neg_hi:[0,1]
	v_pk_add_f32 v[14:15], v[14:15], v[18:19]
	v_pk_add_f32 v[18:19], v[40:41], v[32:33]
	v_pk_mul_f32 v[54:55], v[22:23], s[12:13] op_sel_hi:[1,0]
	v_pk_fma_f32 v[18:19], v[18:19], 0.5, v[24:25] op_sel_hi:[1,0,1] neg_lo:[1,0,0] neg_hi:[1,0,0]
	v_pk_add_f32 v[2:3], v[80:81], v[88:89]
	v_pk_add_f32 v[56:57], v[18:19], v[54:55] op_sel:[0,1] op_sel_hi:[1,0]
	v_pk_add_f32 v[18:19], v[18:19], v[54:55] op_sel:[0,1] op_sel_hi:[1,0] neg_lo:[0,1] neg_hi:[0,1]
	v_pk_add_f32 v[54:55], v[40:41], v[32:33] neg_lo:[0,1] neg_hi:[0,1]
	v_mul_i32_i24_e32 v45, 10, v48
	v_pk_mul_f32 v[58:59], v[54:55], s[10:11] op_sel_hi:[1,0]
	v_lshl_add_u32 v45, v45, 3, 0
	v_pk_add_f32 v[56:57], v[58:59], v[56:57] op_sel:[1,0] op_sel_hi:[0,1]
	v_pk_add_f32 v[18:19], v[18:19], v[58:59] op_sel:[0,1] op_sel_hi:[1,0] neg_lo:[0,1] neg_hi:[0,1]
	v_pk_fma_f32 v[58:59], v[14:15], s[2:3], v[56:57] op_sel_hi:[1,0,1]
	v_mov_b32_e32 v56, v18
	v_pk_fma_f32 v[56:57], v[14:15], s[2:3], v[56:57] op_sel_hi:[1,0,1]
	v_pk_fma_f32 v[6:7], v[86:87], 0.5, v[6:7] op_sel_hi:[1,0,1] neg_lo:[1,0,0] neg_hi:[1,0,0]
	v_pk_mul_f32 v[68:69], v[56:57], s[10:11] op_sel_hi:[1,0]
	v_pk_fma_f32 v[14:15], v[14:15], s[2:3], v[18:19] op_sel_hi:[1,0,1]
	v_pk_fma_f32 v[70:71], v[56:57], s[16:17], v[68:69] op_sel:[0,0,1] op_sel_hi:[1,0,0] neg_lo:[0,0,1] neg_hi:[0,0,1]
	v_pk_fma_f32 v[56:57], v[56:57], s[16:17], v[68:69] op_sel:[0,0,1] op_sel_hi:[1,0,0]
	v_mov_b32_e32 v68, v10
	v_mov_b32_e32 v71, v57
	v_pk_add_f32 v[56:57], v[24:25], v[36:37]
	v_mov_b32_e32 v69, v5
	v_pk_add_f32 v[56:57], v[56:57], v[40:41]
	v_pk_fma_f32 v[68:69], v[2:3], s[2:3], v[68:69] op_sel_hi:[1,0,1]
	v_pk_add_f32 v[56:57], v[56:57], v[32:33]
	v_pk_add_f32 v[76:77], v[68:69], v[70:71]
	;; [unrolled: 1-line block ×3, first 2 shown]
	v_cmp_gt_u32_e32 vcc, 45, v44
	v_pk_add_f32 v[74:75], v[52:53], v[56:57]
	ds_write2_b64 v45, v[74:75], v[76:77] offset1:1
	v_mov_b32_e32 v74, v40
	v_mov_b32_e32 v75, v32
	;; [unrolled: 1-line block ×4, first 2 shown]
	v_pk_add_f32 v[74:75], v[74:75], v[76:77] neg_lo:[0,1] neg_hi:[0,1]
	v_mov_b32_e32 v32, v41
	v_mov_b32_e32 v40, v37
	;; [unrolled: 1-line block ×4, first 2 shown]
	v_pk_add_f32 v[32:33], v[32:33], v[40:41] neg_lo:[0,1] neg_hi:[0,1]
	v_pk_add_f32 v[74:75], v[74:75], v[10:11]
	v_mov_b32_e32 v10, v33
	v_pk_add_f32 v[32:33], v[32:33], v[10:11]
	v_mov_b32_e32 v75, v23
	v_mov_b32_e32 v33, v22
	v_pk_add_f32 v[22:23], v[36:37], v[28:29]
	v_pk_mul_f32 v[32:33], v[32:33], s[2:3]
	v_fma_f32 v5, -0.5, v22, v24
	v_fma_f32 v67, -0.5, v23, v25
	v_pk_mul_f32 v[24:25], v[60:61], s[12:13] op_sel_hi:[1,0]
	v_fmamk_f32 v10, v55, 0x3f737871, v5
	v_pk_add_f32 v[28:29], v[6:7], v[24:25] op_sel:[0,1] op_sel_hi:[1,0]
	v_pk_add_f32 v[6:7], v[6:7], v[24:25] op_sel:[0,1] op_sel_hi:[1,0] neg_lo:[0,1] neg_hi:[0,1]
	v_pk_mul_f32 v[24:25], v[84:85], s[10:11] op_sel_hi:[1,0]
	v_fmamk_f32 v36, v54, 0xbf737871, v67
	v_pk_add_f32 v[6:7], v[6:7], v[24:25] op_sel:[0,1] op_sel_hi:[1,0]
	v_pk_add_f32 v[24:25], v[28:29], v[24:25] op_sel:[0,1] op_sel_hi:[1,0] neg_lo:[0,1] neg_hi:[0,1]
	v_pk_mul_f32 v[28:29], v[74:75], s[2:3]
	v_fmac_f32_e32 v5, 0xbf737871, v55
	v_sub_f32_e32 v40, v10, v29
	v_add_f32_e32 v10, v33, v36
	v_add_f32_e32 v10, v32, v10
	v_fmac_f32_e32 v67, 0x3f737871, v54
	v_pk_mul_f32 v[36:37], v[10:11], s[6:7] op_sel_hi:[0,1]
	v_add_f32_e32 v10, v28, v40
	v_add_f32_e32 v5, v29, v5
	v_pk_fma_f32 v[40:41], v[10:11], s[4:5], v[36:37] neg_lo:[0,0,1] neg_hi:[0,0,1]
	v_pk_fma_f32 v[36:37], v[10:11], s[4:5], v[36:37] op_sel_hi:[0,1,1]
	v_add_f32_e32 v10, v28, v5
	v_sub_f32_e32 v5, v67, v33
	v_add_f32_e32 v28, v32, v5
	v_mov_b32_e32 v5, v11
	v_pk_add_f32 v[22:23], v[82:83], v[90:91]
	v_pk_mul_f32 v[28:29], v[28:29], s[6:7] op_sel_hi:[0,1]
	v_mov_b32_e32 v33, v7
	v_mov_b32_e32 v7, v25
	v_pk_fma_f32 v[2:3], v[2:3], s[2:3], v[4:5] op_sel_hi:[1,0,1]
	v_pk_mul_f32 v[4:5], v[14:15], s[20:21] op_sel:[1,0]
	v_pk_fma_f32 v[28:29], v[10:11], s[14:15], v[28:29] op_sel_hi:[0,1,1] neg_lo:[0,0,1] neg_hi:[0,0,1]
	v_mov_b32_e32 v32, v24
	v_pk_fma_f32 v[6:7], v[22:23], s[2:3], v[6:7] op_sel_hi:[1,0,1]
	v_pk_fma_f32 v[4:5], v[58:59], s[18:19], v[4:5] op_sel_hi:[0,1,1] neg_lo:[0,0,1] neg_hi:[0,0,1]
	v_mov_b32_e32 v41, v37
	v_pk_fma_f32 v[24:25], v[22:23], s[2:3], v[32:33] op_sel_hi:[1,0,1]
	v_pk_add_f32 v[32:33], v[6:7], v[28:29]
	v_pk_add_f32 v[10:11], v[52:53], v[56:57] neg_lo:[0,1] neg_hi:[0,1]
	v_pk_add_f32 v[14:15], v[2:3], v[4:5]
	v_pk_add_f32 v[6:7], v[6:7], v[28:29] neg_lo:[0,1] neg_hi:[0,1]
	v_pk_add_f32 v[2:3], v[2:3], v[4:5] neg_lo:[0,1] neg_hi:[0,1]
	v_pk_add_f32 v[22:23], v[24:25], v[40:41]
	ds_write2_b64 v45, v[14:15], v[10:11] offset0:4 offset1:5
	v_pk_add_f32 v[10:11], v[68:69], v[70:71] neg_lo:[0,1] neg_hi:[0,1]
	v_pk_add_f32 v[14:15], v[24:25], v[40:41] neg_lo:[0,1] neg_hi:[0,1]
	ds_write2_b64 v45, v[6:7], v[2:3] offset0:8 offset1:9
	v_pk_add_f32 v[2:3], v[38:39], v[42:43] neg_lo:[0,1] neg_hi:[0,1]
	v_pk_add_f32 v[4:5], v[30:31], v[34:35] neg_lo:[0,1] neg_hi:[0,1]
	ds_write2_b64 v45, v[22:23], v[32:33] offset0:2 offset1:3
	ds_write2_b64 v45, v[10:11], v[14:15] offset0:6 offset1:7
	v_pk_add_f32 v[10:11], v[0:1], v[8:9] neg_lo:[0,1] neg_hi:[0,1]
	v_pk_add_f32 v[14:15], v[16:17], v[12:13] neg_lo:[0,1] neg_hi:[0,1]
	v_pk_add_f32 v[2:3], v[2:3], v[4:5]
	v_pk_add_f32 v[4:5], v[42:43], v[34:35]
	v_pk_add_f32 v[22:23], v[38:39], v[30:31] neg_lo:[0,1] neg_hi:[0,1]
	v_pk_add_f32 v[32:33], v[10:11], v[14:15]
	v_pk_fma_f32 v[4:5], v[4:5], 0.5, v[26:27] op_sel_hi:[1,0,1] neg_lo:[1,0,0] neg_hi:[1,0,0]
	v_pk_mul_f32 v[6:7], v[22:23], s[12:13] op_sel_hi:[1,0]
	v_pk_add_f32 v[14:15], v[42:43], v[34:35] neg_lo:[0,1] neg_hi:[0,1]
	v_pk_add_f32 v[10:11], v[4:5], v[6:7] op_sel:[0,1] op_sel_hi:[1,0]
	v_pk_add_f32 v[4:5], v[4:5], v[6:7] op_sel:[0,1] op_sel_hi:[1,0] neg_lo:[0,1] neg_hi:[0,1]
	v_pk_mul_f32 v[6:7], v[14:15], s[10:11] op_sel_hi:[1,0]
	s_nop 0
	v_pk_add_f32 v[10:11], v[6:7], v[10:11] op_sel:[1,0] op_sel_hi:[0,1]
	v_pk_add_f32 v[4:5], v[4:5], v[6:7] op_sel:[0,1] op_sel_hi:[1,0] neg_lo:[0,1] neg_hi:[0,1]
	v_pk_fma_f32 v[28:29], v[2:3], s[2:3], v[10:11] op_sel_hi:[1,0,1]
	v_mov_b32_e32 v10, v4
	v_pk_fma_f32 v[6:7], v[2:3], s[2:3], v[10:11] op_sel_hi:[1,0,1]
	v_pk_fma_f32 v[4:5], v[2:3], s[2:3], v[4:5] op_sel_hi:[1,0,1]
	v_pk_mul_f32 v[2:3], v[6:7], s[10:11] op_sel_hi:[1,0]
	v_pk_mul_f32 v[4:5], v[4:5], s[20:21] op_sel:[1,0]
	v_pk_fma_f32 v[10:11], v[6:7], s[16:17], v[2:3] op_sel:[0,0,1] op_sel_hi:[1,0,0]
	v_pk_fma_f32 v[18:19], v[6:7], s[16:17], v[2:3] op_sel:[0,0,1] op_sel_hi:[1,0,0] neg_lo:[0,0,1] neg_hi:[0,0,1]
	v_pk_add_f32 v[2:3], v[8:9], v[12:13]
	v_pk_add_f32 v[6:7], v[0:1], v[16:17] neg_lo:[0,1] neg_hi:[0,1]
	v_mov_b32_e32 v19, v11
	v_pk_fma_f32 v[2:3], v[2:3], 0.5, v[20:21] op_sel_hi:[1,0,1] neg_lo:[1,0,0] neg_hi:[1,0,0]
	v_pk_mul_f32 v[10:11], v[6:7], s[12:13] op_sel_hi:[1,0]
	v_pk_fma_f32 v[4:5], v[28:29], s[18:19], v[4:5] op_sel_hi:[0,1,1] neg_lo:[0,0,1] neg_hi:[0,0,1]
	v_pk_add_f32 v[24:25], v[2:3], v[10:11] op_sel:[0,1] op_sel_hi:[1,0]
	v_pk_add_f32 v[2:3], v[2:3], v[10:11] op_sel:[0,1] op_sel_hi:[1,0] neg_lo:[0,1] neg_hi:[0,1]
	v_pk_add_f32 v[10:11], v[8:9], v[12:13] neg_lo:[0,1] neg_hi:[0,1]
	v_pk_add_f32 v[28:29], v[20:21], v[0:1]
	v_pk_mul_f32 v[36:37], v[10:11], s[10:11] op_sel_hi:[1,0]
	v_pk_add_f32 v[28:29], v[28:29], v[8:9]
	v_pk_add_f32 v[40:41], v[24:25], v[36:37] op_sel:[0,1] op_sel_hi:[1,0]
	v_pk_add_f32 v[2:3], v[2:3], v[36:37] op_sel:[0,1] op_sel_hi:[1,0] neg_lo:[0,1] neg_hi:[0,1]
	v_mov_b32_e32 v25, v41
	v_mov_b32_e32 v24, v2
	;; [unrolled: 1-line block ×3, first 2 shown]
	v_pk_fma_f32 v[24:25], v[32:33], s[2:3], v[24:25] op_sel_hi:[1,0,1]
	v_pk_fma_f32 v[2:3], v[32:33], s[2:3], v[40:41] op_sel_hi:[1,0,1]
	v_pk_add_f32 v[32:33], v[26:27], v[38:39]
	v_pk_add_f32 v[28:29], v[28:29], v[12:13]
	;; [unrolled: 1-line block ×7, first 2 shown]
	v_pk_add_f32 v[40:41], v[24:25], v[18:19] neg_lo:[0,1] neg_hi:[0,1]
	v_pk_add_f32 v[60:61], v[28:29], v[32:33] neg_lo:[0,1] neg_hi:[0,1]
	s_and_saveexec_b64 s[10:11], vcc
	s_cbranch_execz .LBB0_15
; %bb.14:
	v_mov_b32_e32 v36, v42
	v_mov_b32_e32 v37, v34
	;; [unrolled: 1-line block ×4, first 2 shown]
	v_pk_add_f32 v[36:37], v[36:37], v[54:55] neg_lo:[0,1] neg_hi:[0,1]
	v_pk_add_f32 v[54:55], v[38:39], v[30:31]
	v_mov_b32_e32 v34, v37
	v_pk_add_f32 v[36:37], v[36:37], v[34:35]
	v_mov_b32_e32 v34, v43
	v_mov_b32_e32 v30, v39
	v_pk_add_f32 v[30:31], v[34:35], v[30:31] neg_lo:[0,1] neg_hi:[0,1]
	v_mov_b32_e32 v37, v23
	v_fma_f32 v38, -0.5, v54, v26
	v_mov_b32_e32 v34, v31
	v_pk_mul_f32 v[36:37], v[36:37], s[2:3]
	v_fmamk_f32 v23, v15, 0xbf737871, v38
	v_pk_add_f32 v[30:31], v[30:31], v[34:35]
	v_add_f32_e32 v23, v37, v23
	v_fma_f32 v27, -0.5, v55, v27
	v_mov_b32_e32 v31, v22
	v_fmac_f32_e32 v38, 0x3f737871, v15
	v_add_f32_e32 v26, v36, v23
	v_fmamk_f32 v34, v14, 0x3f737871, v27
	v_pk_mul_f32 v[22:23], v[30:31], s[2:3]
	v_sub_f32_e32 v15, v38, v37
	v_fmac_f32_e32 v27, 0xbf737871, v14
	v_sub_f32_e32 v30, v34, v23
	v_add_f32_e32 v34, v36, v15
	v_add_f32_e32 v14, v23, v27
	v_mul_i32_i24_e32 v15, 10, v50
	v_add_f32_e32 v30, v22, v30
	v_add_f32_e32 v14, v22, v14
	v_lshl_add_u32 v27, v15, 3, 0
	v_pk_add_f32 v[22:23], v[28:29], v[32:33]
	v_pk_add_f32 v[18:19], v[24:25], v[18:19]
	ds_write2_b64 v27, v[22:23], v[18:19] offset1:1
	v_pk_add_f32 v[18:19], v[0:1], v[16:17]
	s_mov_b32 s12, s5
	v_pk_fma_f32 v[18:19], -0.5, v[18:19], v[20:21] op_sel_hi:[0,1,1]
	v_pk_mul_f32 v[10:11], v[10:11], s[12:13] op_sel_hi:[1,0]
	s_mov_b32 s12, s3
	v_pk_add_f32 v[0:1], v[8:9], v[0:1] neg_lo:[0,1] neg_hi:[0,1]
	v_pk_add_f32 v[8:9], v[12:13], v[16:17] neg_lo:[0,1] neg_hi:[0,1]
	v_pk_mul_f32 v[6:7], v[6:7], s[12:13] op_sel_hi:[1,0]
	v_pk_add_f32 v[0:1], v[0:1], v[8:9]
	v_pk_add_f32 v[8:9], v[18:19], v[10:11] op_sel:[0,1] op_sel_hi:[1,0]
	v_pk_add_f32 v[10:11], v[18:19], v[10:11] op_sel:[0,1] op_sel_hi:[1,0] neg_lo:[0,1] neg_hi:[0,1]
	v_pk_mul_f32 v[12:13], v[14:15], s[6:7] op_sel_hi:[0,1]
	v_pk_add_f32 v[10:11], v[10:11], v[6:7] op_sel:[0,1] op_sel_hi:[1,0]
	v_pk_add_f32 v[6:7], v[8:9], v[6:7] op_sel:[0,1] op_sel_hi:[1,0] neg_lo:[0,1] neg_hi:[0,1]
	v_mov_b32_e32 v9, v11
	v_mov_b32_e32 v8, v6
	v_pk_fma_f32 v[14:15], v[34:35], s[4:5], v[12:13] neg_lo:[0,0,1] neg_hi:[0,0,1]
	v_pk_fma_f32 v[12:13], v[34:35], s[4:5], v[12:13] op_sel_hi:[0,1,1]
	v_pk_mul_f32 v[16:17], v[30:31], s[6:7] op_sel_hi:[0,1]
	v_mov_b32_e32 v11, v7
	v_pk_fma_f32 v[8:9], v[0:1], s[2:3], v[8:9] op_sel_hi:[1,0,1]
	v_mov_b32_e32 v15, v13
	v_pk_fma_f32 v[16:17], v[26:27], s[14:15], v[16:17] op_sel_hi:[0,1,1] neg_lo:[0,0,1] neg_hi:[0,0,1]
	v_pk_fma_f32 v[0:1], v[0:1], s[2:3], v[10:11] op_sel_hi:[1,0,1]
	v_pk_add_f32 v[12:13], v[8:9], v[14:15]
	v_pk_add_f32 v[6:7], v[0:1], v[16:17]
	ds_write2_b64 v27, v[12:13], v[6:7] offset0:2 offset1:3
	ds_write2_b64 v27, v[52:53], v[60:61] offset0:4 offset1:5
	v_pk_add_f32 v[6:7], v[8:9], v[14:15] neg_lo:[0,1] neg_hi:[0,1]
	v_pk_add_f32 v[0:1], v[0:1], v[16:17] neg_lo:[0,1] neg_hi:[0,1]
	;; [unrolled: 1-line block ×3, first 2 shown]
	ds_write2_b64 v27, v[40:41], v[6:7] offset0:6 offset1:7
	ds_write2_b64 v27, v[0:1], v[2:3] offset0:8 offset1:9
.LBB0_15:
	s_or_b64 exec, exec, s[10:11]
	s_movk_i32 s2, 0xffb8
	v_lshl_add_u32 v77, v50, 3, 0
	v_add_u32_e32 v36, 0x1c2, v44
	v_add_u32_e32 v38, 0x168, v44
	;; [unrolled: 1-line block ×3, first 2 shown]
	s_waitcnt lgkmcnt(0)
	s_barrier
	ds_read2_b64 v[20:23], v66 offset0:110 offset1:200
	ds_read2_b64 v[16:19], v64 offset0:92 offset1:182
	;; [unrolled: 1-line block ×4, first 2 shown]
	v_mad_i32_i24 v0, v44, s2, v78
	ds_read_b64 v[68:69], v72
	ds_read_b64 v[64:65], v0 offset:2160
	v_lshl_add_u32 v76, v38, 3, 0
	ds_read2_b64 v[12:15], v62 offset0:86 offset1:176
	ds_read2_b64 v[8:11], v49 offset0:68 offset1:158
	v_lshl_add_u32 v75, v36, 3, 0
	v_lshl_add_u32 v74, v34, 3, 0
	ds_read_b64 v[66:67], v77
	ds_read_b64 v[62:63], v76
	;; [unrolled: 1-line block ×4, first 2 shown]
	ds_read2_b64 v[4:7], v51 offset0:10 offset1:100
	v_mad_i32_i24 v33, v48, s2, v45
	v_add_u32_e32 v32, 0x276, v44
	v_add_u32_e32 v0, 0x3c00, v72
	ds_read2_b64 v[0:3], v0 offset0:120 offset1:210
	v_lshl_add_u32 v73, v32, 3, 0
	ds_read_b64 v[70:71], v33
	ds_read_b64 v[54:55], v73
	v_mul_i32_i24_e32 v33, 0xffffffb8, v44
	v_cmp_lt_u32_e64 s[4:5], 29, v44
	v_cmp_gt_u32_e64 s[2:3], 30, v44
	v_add_u32_e32 v78, v78, v33
	s_and_saveexec_b64 s[6:7], s[2:3]
	s_cbranch_execz .LBB0_17
; %bb.16:
	ds_read_b64 v[52:53], v78 offset:5760
	ds_read_b64 v[60:61], v72 offset:11760
	;; [unrolled: 1-line block ×3, first 2 shown]
.LBB0_17:
	s_or_b64 exec, exec, s[6:7]
	v_add_u32_e32 v35, 0x10e, v44
	s_mov_b32 s7, 0xcccd
	v_mul_u32_u24_sdwa v33, v35, s7 dst_sel:DWORD dst_unused:UNUSED_PAD src0_sel:WORD_0 src1_sel:DWORD
	v_lshrrev_b32_e32 v79, 19, v33
	v_add_u32_e32 v37, 0x2d0, v44
	v_mul_lo_u16_e32 v33, 10, v79
	s_movk_i32 s10, 0xcd
	v_sub_u16_e32 v118, v35, v33
	v_mul_u32_u24_sdwa v33, v37, s7 dst_sel:DWORD dst_unused:UNUSED_PAD src0_sel:WORD_0 src1_sel:DWORD
	v_mul_lo_u16_sdwa v43, v44, s10 dst_sel:DWORD dst_unused:UNUSED_PAD src0_sel:BYTE_0 src1_sel:DWORD
	v_mul_lo_u16_sdwa v92, v48, s10 dst_sel:DWORD dst_unused:UNUSED_PAD src0_sel:BYTE_0 src1_sel:DWORD
	v_lshrrev_b32_e32 v49, 19, v33
	v_mul_u32_u24_sdwa v96, v38, s7 dst_sel:DWORD dst_unused:UNUSED_PAD src0_sel:WORD_0 src1_sel:DWORD
	v_lshrrev_b16_e32 v121, 11, v92
	v_lshrrev_b16_e32 v43, 11, v43
	v_mul_lo_u16_e32 v33, 10, v49
	v_mul_lo_u16_e32 v92, 10, v121
	v_lshrrev_b32_e32 v123, 19, v96
	v_mul_lo_u16_e32 v96, 10, v43
	v_sub_u16_e32 v51, v37, v33
	v_mov_b32_e32 v42, 4
	v_sub_u16_e32 v122, v48, v92
	v_sub_u16_e32 v101, v44, v96
	v_lshlrev_b32_e32 v33, 4, v51
	v_mul_u32_u24_sdwa v97, v36, s7 dst_sel:DWORD dst_unused:UNUSED_PAD src0_sel:WORD_0 src1_sel:DWORD
	v_mul_u32_u24_sdwa v98, v34, s7 dst_sel:DWORD dst_unused:UNUSED_PAD src0_sel:WORD_0 src1_sel:DWORD
	;; [unrolled: 1-line block ×3, first 2 shown]
	v_lshlrev_b32_sdwa v92, v42, v122 dst_sel:DWORD dst_unused:UNUSED_PAD src0_sel:DWORD src1_sel:BYTE_0
	v_lshlrev_b32_sdwa v42, v42, v101 dst_sel:DWORD dst_unused:UNUSED_PAD src0_sel:DWORD src1_sel:BYTE_0
	global_load_dwordx4 v[80:83], v33, s[8:9]
	v_lshrrev_b32_e32 v124, 19, v97
	v_lshrrev_b32_e32 v125, 19, v98
	v_lshrrev_b32_e32 v126, 19, v99
	global_load_dwordx4 v[96:99], v42, s[8:9]
	v_lshlrev_b32_e32 v33, 4, v118
	global_load_dwordx4 v[84:87], v33, s[8:9]
	v_mul_lo_u16_e32 v42, 10, v124
	global_load_dwordx4 v[92:95], v92, s[8:9]
	v_mul_u32_u24_sdwa v33, v50, s7 dst_sel:DWORD dst_unused:UNUSED_PAD src0_sel:WORD_0 src1_sel:DWORD
	v_lshrrev_b32_e32 v119, 19, v33
	v_mul_lo_u16_e32 v33, 10, v119
	v_sub_u16_e32 v120, v50, v33
	v_lshlrev_b32_e32 v33, 4, v120
	global_load_dwordx4 v[88:91], v33, s[8:9]
	v_mov_b32_e32 v39, 3
	v_mul_lo_u16_e32 v100, 10, v123
	v_mul_lo_u16_e32 v102, 10, v125
	;; [unrolled: 1-line block ×3, first 2 shown]
	v_mul_u32_u24_e32 v127, 0xf0, v43
	v_sub_u16_e32 v129, v36, v42
	v_sub_u16_e32 v128, v38, v100
	;; [unrolled: 1-line block ×4, first 2 shown]
	v_lshlrev_b32_sdwa v136, v39, v101 dst_sel:DWORD dst_unused:UNUSED_PAD src0_sel:DWORD src1_sel:BYTE_0
	v_lshlrev_b32_e32 v132, 4, v128
	v_lshlrev_b32_e32 v133, 4, v129
	;; [unrolled: 1-line block ×4, first 2 shown]
	s_mov_b32 s6, 0x3f5db3d7
	s_mov_b32 s11, 0x5040100
	v_mul_i32_i24_e32 v33, 0xffffffb8, v48
	s_waitcnt vmcnt(4) lgkmcnt(1)
	v_pk_mul_f32 v[42:43], v[60:61], v[80:81] op_sel_hi:[0,1]
	s_waitcnt lgkmcnt(0)
	v_pk_mul_f32 v[100:101], v[40:41], v[82:83] op_sel_hi:[0,1]
	v_pk_fma_f32 v[106:107], v[60:61], v[80:81], v[42:43] op_sel:[1,0,1] op_sel_hi:[1,1,0] neg_lo:[0,0,1] neg_hi:[0,0,1]
	v_pk_fma_f32 v[42:43], v[60:61], v[80:81], v[42:43] op_sel:[1,0,1] op_sel_hi:[1,1,0]
	v_pk_fma_f32 v[60:61], v[40:41], v[82:83], v[100:101] op_sel:[1,0,1] op_sel_hi:[1,1,0] neg_lo:[0,0,1] neg_hi:[0,0,1]
	v_pk_fma_f32 v[40:41], v[40:41], v[82:83], v[100:101] op_sel:[1,0,1] op_sel_hi:[1,1,0]
	s_waitcnt vmcnt(2)
	v_pk_mul_f32 v[102:103], v[84:85], v[30:31] op_sel:[0,1]
	v_mov_b32_e32 v104, v87
	v_pk_fma_f32 v[100:101], v[84:85], v[30:31], v[102:103] op_sel:[0,0,1] op_sel_hi:[1,1,0]
	v_pk_fma_f32 v[102:103], v[84:85], v[30:31], v[102:103] op_sel:[0,0,1] op_sel_hi:[1,0,0] neg_lo:[1,0,0] neg_hi:[1,0,0]
	v_pk_mul_f32 v[30:31], v[26:27], v[104:105] op_sel_hi:[1,0]
	v_mov_b32_e32 v107, v43
	v_pk_fma_f32 v[114:115], v[26:27], v[86:87], v[30:31] op_sel:[0,0,1] op_sel_hi:[1,1,0]
	v_pk_fma_f32 v[116:117], v[26:27], v[86:87], v[30:31] op_sel:[0,0,1] op_sel_hi:[1,0,0] neg_lo:[0,0,1] neg_hi:[0,0,1]
	s_waitcnt vmcnt(0)
	v_pk_mul_f32 v[80:81], v[88:89], v[28:29] op_sel:[0,1]
	v_mov_b32_e32 v61, v41
	v_pk_fma_f32 v[108:109], v[88:89], v[28:29], v[80:81] op_sel:[0,0,1] op_sel_hi:[1,1,0]
	v_pk_fma_f32 v[110:111], v[88:89], v[28:29], v[80:81] op_sel:[0,0,1] op_sel_hi:[1,0,0] neg_lo:[1,0,0] neg_hi:[1,0,0]
	v_pk_mul_f32 v[28:29], v[90:91], v[24:25] op_sel:[0,1]
	v_mov_b32_e32 v109, v111
	v_pk_fma_f32 v[104:105], v[90:91], v[24:25], v[28:29] op_sel:[0,0,1] op_sel_hi:[1,1,0]
	v_pk_fma_f32 v[112:113], v[90:91], v[24:25], v[28:29] op_sel:[0,0,1] op_sel_hi:[1,0,0] neg_lo:[1,0,0] neg_hi:[1,0,0]
	global_load_dwordx4 v[28:31], v132, s[8:9]
	global_load_dwordx4 v[80:83], v133, s[8:9]
	;; [unrolled: 1-line block ×4, first 2 shown]
	v_mov_b32_e32 v24, v43
	v_mov_b32_e32 v25, v106
	v_pk_add_f32 v[42:43], v[106:107], v[60:61] neg_lo:[0,1] neg_hi:[0,1]
	v_pk_mul_f32 v[106:107], v[92:93], v[22:23] op_sel:[0,1]
	v_mov_b32_e32 v26, v41
	v_pk_fma_f32 v[110:111], v[92:93], v[22:23], v[106:107] op_sel:[0,0,1] op_sel_hi:[1,1,0]
	v_pk_fma_f32 v[22:23], v[92:93], v[22:23], v[106:107] op_sel:[0,0,1] op_sel_hi:[1,0,0] neg_lo:[1,0,0] neg_hi:[1,0,0]
	v_mov_b32_e32 v27, v60
	v_mov_b32_e32 v111, v23
	v_pk_mul_f32 v[22:23], v[94:95], v[18:19] op_sel:[0,1]
	v_pk_add_f32 v[40:41], v[24:25], v[26:27]
	v_pk_fma_f32 v[92:93], v[94:95], v[18:19], v[22:23] op_sel:[0,0,1] op_sel_hi:[1,1,0]
	v_pk_fma_f32 v[18:19], v[94:95], v[18:19], v[22:23] op_sel:[0,0,1] op_sel_hi:[1,0,0] neg_lo:[1,0,0] neg_hi:[1,0,0]
	v_pk_mul_f32 v[22:23], v[96:97], v[20:21] op_sel:[0,1]
	v_pk_fma_f32 v[60:61], v[40:41], 0.5, v[52:53] op_sel_hi:[1,0,1] neg_lo:[1,0,0] neg_hi:[1,0,0]
	v_pk_fma_f32 v[94:95], v[96:97], v[20:21], v[22:23] op_sel:[0,0,1] op_sel_hi:[1,1,0]
	v_pk_fma_f32 v[20:21], v[96:97], v[20:21], v[22:23] op_sel:[0,0,1] op_sel_hi:[1,0,0] neg_lo:[1,0,0] neg_hi:[1,0,0]
	v_pk_fma_f32 v[40:41], v[42:43], s[6:7], v[60:61] op_sel_hi:[1,0,1]
	v_mov_b32_e32 v95, v21
	v_pk_mul_f32 v[20:21], v[98:99], v[16:17] op_sel:[0,1]
	v_pk_fma_f32 v[42:43], v[42:43], s[6:7], v[60:61] op_sel_hi:[1,0,1] neg_lo:[1,0,0] neg_hi:[1,0,0]
	v_pk_fma_f32 v[22:23], v[98:99], v[16:17], v[20:21] op_sel:[0,0,1] op_sel_hi:[1,1,0]
	v_pk_fma_f32 v[16:17], v[98:99], v[16:17], v[20:21] op_sel:[0,0,1] op_sel_hi:[1,0,0] neg_lo:[1,0,0] neg_hi:[1,0,0]
	s_movk_i32 s7, 0xf0
	v_mov_b32_e32 v23, v17
	v_pk_add_f32 v[16:17], v[68:69], v[94:95]
	v_pk_add_f32 v[20:21], v[94:95], v[22:23]
	v_pk_add_f32 v[16:17], v[16:17], v[22:23]
	v_pk_add_f32 v[22:23], v[94:95], v[22:23] neg_lo:[0,1] neg_hi:[0,1]
	v_pk_fma_f32 v[20:21], v[20:21], 0.5, v[68:69] op_sel_hi:[1,0,1] neg_lo:[1,0,0] neg_hi:[1,0,0]
	v_pk_mul_f32 v[22:23], v[22:23], s[6:7] op_sel_hi:[1,0]
	v_add3_u32 v112, 0, v127, v136
	v_pk_add_f32 v[68:69], v[20:21], v[22:23] op_sel:[0,1] op_sel_hi:[1,0] neg_lo:[0,1] neg_hi:[0,1]
	v_pk_add_f32 v[20:21], v[20:21], v[22:23] op_sel:[0,1] op_sel_hi:[1,0]
	v_mov_b32_e32 v93, v19
	v_mov_b32_e32 v22, v68
	;; [unrolled: 1-line block ×4, first 2 shown]
	s_barrier
	ds_write2_b64 v112, v[16:17], v[22:23] offset1:10
	ds_write_b64 v112, v[20:21] offset:160
	v_pk_add_f32 v[16:17], v[110:111], v[92:93]
	v_pk_add_f32 v[20:21], v[110:111], v[92:93] neg_lo:[0,1] neg_hi:[0,1]
	v_pk_fma_f32 v[16:17], v[16:17], 0.5, v[70:71] op_sel_hi:[1,0,1] neg_lo:[1,0,0] neg_hi:[1,0,0]
	v_pk_mul_f32 v[20:21], v[20:21], s[6:7] op_sel_hi:[1,0]
	v_mul_u32_u24_e32 v60, 0xf0, v121
	v_lshlrev_b32_sdwa v61, v39, v122 dst_sel:DWORD dst_unused:UNUSED_PAD src0_sel:DWORD src1_sel:BYTE_0
	v_pk_add_f32 v[18:19], v[70:71], v[110:111]
	v_pk_add_f32 v[22:23], v[16:17], v[20:21] op_sel:[0,1] op_sel_hi:[1,0] neg_lo:[0,1] neg_hi:[0,1]
	v_pk_add_f32 v[16:17], v[16:17], v[20:21] op_sel:[0,1] op_sel_hi:[1,0]
	v_add3_u32 v116, 0, v60, v61
	v_mov_b32_e32 v105, v113
	v_pk_add_f32 v[18:19], v[18:19], v[92:93]
	v_mov_b32_e32 v20, v22
	v_mov_b32_e32 v21, v17
	;; [unrolled: 1-line block ×3, first 2 shown]
	v_perm_b32 v60, v79, v119, s11
	ds_write2_b64 v116, v[18:19], v[20:21] offset1:10
	ds_write_b64 v116, v[16:17] offset:160
	v_pk_add_f32 v[16:17], v[108:109], v[104:105]
	v_pk_add_f32 v[18:19], v[108:109], v[104:105] neg_lo:[0,1] neg_hi:[0,1]
	v_pk_mul_lo_u16 v60, v60, s7 op_sel_hi:[1,0]
	v_pk_fma_f32 v[16:17], v[16:17], 0.5, v[66:67] op_sel_hi:[1,0,1] neg_lo:[1,0,0] neg_hi:[1,0,0]
	v_pk_mul_f32 v[18:19], v[18:19], s[6:7] op_sel_hi:[1,0]
	v_and_b32_e32 v61, 0xfff0, v60
	v_lshlrev_b32_e32 v79, 3, v120
	v_mov_b32_e32 v101, v103
	v_pk_add_f32 v[102:103], v[66:67], v[108:109]
	v_pk_add_f32 v[20:21], v[16:17], v[18:19] op_sel:[0,1] op_sel_hi:[1,0] neg_lo:[0,1] neg_hi:[0,1]
	v_pk_add_f32 v[16:17], v[16:17], v[18:19] op_sel:[0,1] op_sel_hi:[1,0]
	v_add3_u32 v79, 0, v61, v79
	v_mov_b32_e32 v115, v117
	v_pk_add_f32 v[102:103], v[102:103], v[104:105]
	v_mov_b32_e32 v18, v20
	v_mov_b32_e32 v19, v17
	;; [unrolled: 1-line block ×3, first 2 shown]
	ds_write2_b64 v79, v[102:103], v[18:19] offset1:10
	ds_write_b64 v79, v[16:17] offset:160
	v_pk_add_f32 v[16:17], v[100:101], v[114:115]
	v_pk_add_f32 v[18:19], v[100:101], v[114:115] neg_lo:[0,1] neg_hi:[0,1]
	v_pk_fma_f32 v[16:17], v[16:17], 0.5, v[64:65] op_sel_hi:[1,0,1] neg_lo:[1,0,0] neg_hi:[1,0,0]
	v_pk_mul_f32 v[18:19], v[18:19], s[6:7] op_sel_hi:[1,0]
	v_lshrrev_b32_e32 v60, 16, v60
	v_lshlrev_b32_e32 v61, 3, v118
	v_pk_add_f32 v[20:21], v[16:17], v[18:19] op_sel:[0,1] op_sel_hi:[1,0] neg_lo:[0,1] neg_hi:[0,1]
	v_pk_add_f32 v[16:17], v[16:17], v[18:19] op_sel:[0,1] op_sel_hi:[1,0]
	v_add3_u32 v118, 0, v60, v61
	v_pk_add_f32 v[60:61], v[64:65], v[100:101]
	v_mov_b32_e32 v19, v17
	v_mov_b32_e32 v17, v21
	v_pk_add_f32 v[60:61], v[60:61], v[114:115]
	v_mov_b32_e32 v18, v20
	ds_write_b64 v118, v[16:17] offset:160
	s_waitcnt vmcnt(3)
	v_pk_mul_f32 v[16:17], v[12:13], v[28:29] op_sel:[0,1]
	ds_write2_b64 v118, v[60:61], v[18:19] offset1:10
	v_pk_fma_f32 v[18:19], v[12:13], v[28:29], v[16:17] op_sel:[0,0,1] op_sel_hi:[1,1,0]
	v_pk_fma_f32 v[12:13], v[12:13], v[28:29], v[16:17] op_sel:[0,0,1] op_sel_hi:[1,0,0] neg_lo:[0,0,1] neg_hi:[0,0,1]
	s_nop 0
	v_mov_b32_e32 v12, v31
	v_mov_b32_e32 v19, v13
	v_pk_mul_f32 v[12:13], v[8:9], v[12:13] op_sel_hi:[1,0]
	s_nop 0
	v_pk_fma_f32 v[16:17], v[8:9], v[30:31], v[12:13] op_sel:[0,0,1] op_sel_hi:[1,1,0]
	v_pk_fma_f32 v[8:9], v[8:9], v[30:31], v[12:13] op_sel:[0,0,1] op_sel_hi:[1,0,0] neg_lo:[0,0,1] neg_hi:[0,0,1]
	s_nop 0
	v_mov_b32_e32 v17, v9
	v_pk_add_f32 v[8:9], v[62:63], v[18:19]
	v_pk_add_f32 v[12:13], v[18:19], v[16:17]
	;; [unrolled: 1-line block ×3, first 2 shown]
	v_pk_add_f32 v[16:17], v[18:19], v[16:17] neg_lo:[0,1] neg_hi:[0,1]
	v_pk_fma_f32 v[12:13], v[12:13], 0.5, v[62:63] op_sel_hi:[1,0,1] neg_lo:[1,0,0] neg_hi:[1,0,0]
	v_pk_mul_f32 v[16:17], v[16:17], s[6:7] op_sel_hi:[1,0]
	s_nop 0
	v_pk_add_f32 v[18:19], v[12:13], v[16:17] op_sel:[0,1] op_sel_hi:[1,0] neg_lo:[0,1] neg_hi:[0,1]
	v_pk_add_f32 v[12:13], v[12:13], v[16:17] op_sel:[0,1] op_sel_hi:[1,0]
	v_perm_b32 v16, v124, v123, s11
	v_pk_mul_lo_u16 v20, v16, s7 op_sel_hi:[1,0]
	v_lshlrev_b32_e32 v17, 3, v128
	v_and_b32_e32 v16, 0xfff0, v20
	v_add3_u32 v21, 0, v16, v17
	v_mov_b32_e32 v16, v18
	v_mov_b32_e32 v17, v13
	ds_write2_b64 v21, v[8:9], v[16:17] offset1:10
	v_lshrrev_b32_e32 v8, 16, v20
	v_lshlrev_b32_e32 v9, 3, v129
	v_mov_b32_e32 v13, v19
	v_add3_u32 v16, 0, v8, v9
	s_waitcnt vmcnt(2)
	v_pk_mul_f32 v[8:9], v[14:15], v[80:81] op_sel:[0,1]
	ds_write_b64 v21, v[12:13] offset:160
	v_pk_fma_f32 v[12:13], v[14:15], v[80:81], v[8:9] op_sel:[0,0,1] op_sel_hi:[1,1,0]
	v_pk_fma_f32 v[8:9], v[14:15], v[80:81], v[8:9] op_sel:[0,0,1] op_sel_hi:[1,0,0] neg_lo:[0,0,1] neg_hi:[0,0,1]
	s_nop 0
	v_mov_b32_e32 v8, v83
	v_mov_b32_e32 v13, v9
	v_pk_mul_f32 v[8:9], v[10:11], v[8:9] op_sel_hi:[1,0]
	s_nop 0
	v_pk_fma_f32 v[14:15], v[10:11], v[82:83], v[8:9] op_sel:[0,0,1] op_sel_hi:[1,1,0]
	v_pk_fma_f32 v[8:9], v[10:11], v[82:83], v[8:9] op_sel:[0,0,1] op_sel_hi:[1,0,0] neg_lo:[0,0,1] neg_hi:[0,0,1]
	s_nop 0
	v_mov_b32_e32 v15, v9
	v_pk_add_f32 v[8:9], v[58:59], v[12:13]
	v_pk_add_f32 v[10:11], v[12:13], v[14:15]
	v_pk_add_f32 v[12:13], v[12:13], v[14:15] neg_lo:[0,1] neg_hi:[0,1]
	v_pk_fma_f32 v[10:11], v[10:11], 0.5, v[58:59] op_sel_hi:[1,0,1] neg_lo:[1,0,0] neg_hi:[1,0,0]
	v_pk_mul_f32 v[12:13], v[12:13], s[6:7] op_sel_hi:[1,0]
	v_pk_add_f32 v[8:9], v[8:9], v[14:15]
	v_pk_add_f32 v[14:15], v[10:11], v[12:13] op_sel:[0,1] op_sel_hi:[1,0] neg_lo:[0,1] neg_hi:[0,1]
	v_pk_add_f32 v[10:11], v[10:11], v[12:13] op_sel:[0,1] op_sel_hi:[1,0]
	v_mov_b32_e32 v12, v14
	v_mov_b32_e32 v13, v11
	ds_write2_b64 v16, v[8:9], v[12:13] offset1:10
	v_mov_b32_e32 v11, v15
	s_waitcnt vmcnt(1)
	v_pk_mul_f32 v[8:9], v[4:5], v[84:85] op_sel:[0,1]
	ds_write_b64 v16, v[10:11] offset:160
	v_pk_fma_f32 v[10:11], v[4:5], v[84:85], v[8:9] op_sel:[0,0,1] op_sel_hi:[1,1,0]
	v_pk_fma_f32 v[4:5], v[4:5], v[84:85], v[8:9] op_sel:[0,0,1] op_sel_hi:[1,0,0] neg_lo:[0,0,1] neg_hi:[0,0,1]
	s_nop 0
	v_mov_b32_e32 v4, v87
	v_mov_b32_e32 v11, v5
	v_pk_mul_f32 v[4:5], v[0:1], v[4:5] op_sel_hi:[1,0]
	s_nop 0
	v_pk_fma_f32 v[8:9], v[0:1], v[86:87], v[4:5] op_sel:[0,0,1] op_sel_hi:[1,1,0]
	v_pk_fma_f32 v[0:1], v[0:1], v[86:87], v[4:5] op_sel:[0,0,1] op_sel_hi:[1,0,0] neg_lo:[0,0,1] neg_hi:[0,0,1]
	s_nop 0
	v_mov_b32_e32 v9, v1
	v_pk_add_f32 v[0:1], v[56:57], v[10:11]
	v_pk_add_f32 v[4:5], v[10:11], v[8:9]
	;; [unrolled: 1-line block ×3, first 2 shown]
	v_pk_add_f32 v[8:9], v[10:11], v[8:9] neg_lo:[0,1] neg_hi:[0,1]
	v_pk_fma_f32 v[4:5], v[4:5], 0.5, v[56:57] op_sel_hi:[1,0,1] neg_lo:[1,0,0] neg_hi:[1,0,0]
	v_pk_mul_f32 v[8:9], v[8:9], s[6:7] op_sel_hi:[1,0]
	s_nop 0
	v_pk_add_f32 v[10:11], v[4:5], v[8:9] op_sel:[0,1] op_sel_hi:[1,0] neg_lo:[0,1] neg_hi:[0,1]
	v_pk_add_f32 v[4:5], v[4:5], v[8:9] op_sel:[0,1] op_sel_hi:[1,0]
	v_perm_b32 v8, v126, v125, s11
	v_pk_mul_lo_u16 v12, v8, s7 op_sel_hi:[1,0]
	v_lshlrev_b32_e32 v9, 3, v130
	v_and_b32_e32 v8, 0xfff0, v12
	v_add3_u32 v13, 0, v8, v9
	v_mov_b32_e32 v8, v10
	v_mov_b32_e32 v9, v5
	ds_write2_b64 v13, v[0:1], v[8:9] offset1:10
	v_lshrrev_b32_e32 v0, 16, v12
	v_lshlrev_b32_e32 v1, 3, v131
	v_mov_b32_e32 v5, v11
	v_add3_u32 v8, 0, v0, v1
	s_waitcnt vmcnt(0)
	v_pk_mul_f32 v[0:1], v[6:7], v[88:89] op_sel:[0,1]
	ds_write_b64 v13, v[4:5] offset:160
	v_pk_fma_f32 v[4:5], v[6:7], v[88:89], v[0:1] op_sel:[0,0,1] op_sel_hi:[1,1,0]
	v_pk_fma_f32 v[0:1], v[6:7], v[88:89], v[0:1] op_sel:[0,0,1] op_sel_hi:[1,0,0] neg_lo:[0,0,1] neg_hi:[0,0,1]
	s_nop 0
	v_mov_b32_e32 v0, v91
	v_mov_b32_e32 v5, v1
	v_pk_mul_f32 v[0:1], v[2:3], v[0:1] op_sel_hi:[1,0]
	s_nop 0
	v_pk_fma_f32 v[6:7], v[2:3], v[90:91], v[0:1] op_sel:[0,0,1] op_sel_hi:[1,1,0]
	v_pk_fma_f32 v[0:1], v[2:3], v[90:91], v[0:1] op_sel:[0,0,1] op_sel_hi:[1,0,0] neg_lo:[0,0,1] neg_hi:[0,0,1]
	s_nop 0
	v_mov_b32_e32 v7, v1
	v_pk_add_f32 v[0:1], v[54:55], v[4:5]
	v_pk_add_f32 v[2:3], v[4:5], v[6:7]
	v_pk_add_f32 v[4:5], v[4:5], v[6:7] neg_lo:[0,1] neg_hi:[0,1]
	v_pk_fma_f32 v[2:3], v[2:3], 0.5, v[54:55] op_sel_hi:[1,0,1] neg_lo:[1,0,0] neg_hi:[1,0,0]
	v_pk_mul_f32 v[4:5], v[4:5], s[6:7] op_sel_hi:[1,0]
	v_pk_add_f32 v[0:1], v[0:1], v[6:7]
	v_pk_add_f32 v[6:7], v[2:3], v[4:5] op_sel:[0,1] op_sel_hi:[1,0] neg_lo:[0,1] neg_hi:[0,1]
	v_pk_add_f32 v[2:3], v[2:3], v[4:5] op_sel:[0,1] op_sel_hi:[1,0]
	v_mov_b32_e32 v4, v6
	v_mov_b32_e32 v5, v3
	;; [unrolled: 1-line block ×3, first 2 shown]
	ds_write2_b64 v8, v[0:1], v[4:5] offset1:10
	ds_write_b64 v8, v[2:3] offset:160
	s_and_saveexec_b64 s[6:7], s[2:3]
	s_cbranch_execz .LBB0_19
; %bb.18:
	v_mul_lo_u16_e32 v0, 30, v49
	v_lshlrev_b32_e32 v1, 3, v51
	v_lshlrev_b32_e32 v0, 3, v0
	v_add3_u32 v4, 0, v1, v0
	v_pk_add_f32 v[0:1], v[52:53], v[24:25]
	v_mov_b32_e32 v2, v42
	v_pk_add_f32 v[0:1], v[0:1], v[26:27]
	v_mov_b32_e32 v3, v41
	ds_write2_b64 v4, v[0:1], v[2:3] offset1:10
	v_mov_b32_e32 v0, v40
	v_mov_b32_e32 v1, v43
	ds_write_b64 v4, v[0:1] offset:160
.LBB0_19:
	s_or_b64 exec, exec, s[6:7]
	s_mov_b32 s7, 0x8889
	v_mul_u32_u24_sdwa v0, v38, s7 dst_sel:DWORD dst_unused:UNUSED_PAD src0_sel:WORD_0 src1_sel:DWORD
	v_lshrrev_b32_e32 v27, 20, v0
	v_mul_lo_u16_e32 v0, 30, v27
	v_sub_u16_e32 v28, v38, v0
	v_lshlrev_b32_e32 v0, 5, v28
	s_waitcnt lgkmcnt(0)
	s_barrier
	global_load_dwordx4 v[8:11], v0, s[8:9] offset:160
	global_load_dwordx4 v[12:15], v0, s[8:9] offset:176
	v_mul_u32_u24_sdwa v0, v35, s7 dst_sel:DWORD dst_unused:UNUSED_PAD src0_sel:WORD_0 src1_sel:DWORD
	v_lshrrev_b32_e32 v29, 20, v0
	v_mul_lo_u16_e32 v0, 30, v29
	v_sub_u16_e32 v49, v35, v0
	v_lshlrev_b32_e32 v0, 5, v49
	global_load_dwordx4 v[54:57], v0, s[8:9] offset:176
	global_load_dwordx4 v[58:61], v0, s[8:9] offset:160
	s_movk_i32 s14, 0x89
	v_mul_u32_u24_sdwa v16, v50, s7 dst_sel:DWORD dst_unused:UNUSED_PAD src0_sel:WORD_0 src1_sel:DWORD
	v_add_u32_e32 v26, 0x1400, v72
	v_add_u32_e32 v5, 0x2400, v72
	v_mul_lo_u16_sdwa v6, v44, s14 dst_sel:DWORD dst_unused:UNUSED_PAD src0_sel:BYTE_0 src1_sel:DWORD
	v_mul_lo_u16_sdwa v7, v48, s14 dst_sel:DWORD dst_unused:UNUSED_PAD src0_sel:BYTE_0 src1_sel:DWORD
	v_lshrrev_b32_e32 v51, 20, v16
	v_add_u32_e32 v24, 0x1800, v72
	v_add_u32_e32 v25, 0x3000, v72
	ds_read_b64 v[22:23], v75
	ds_read_b64 v[0:1], v76
	;; [unrolled: 1-line block ×3, first 2 shown]
	ds_read2_b64 v[62:65], v24 offset0:132 offset1:222
	ds_read2_b64 v[66:69], v26 offset0:80 offset1:170
	;; [unrolled: 1-line block ×4, first 2 shown]
	v_lshrrev_b16_e32 v5, 12, v6
	v_lshrrev_b16_e32 v6, 12, v7
	v_mul_lo_u16_e32 v17, 30, v51
	v_mul_lo_u16_e32 v7, 30, v5
	;; [unrolled: 1-line block ×3, first 2 shown]
	v_sub_u16_e32 v70, v50, v17
	v_mov_b32_e32 v4, 5
	v_sub_u16_e32 v7, v44, v7
	v_sub_u16_e32 v16, v48, v16
	v_lshlrev_b32_e32 v18, 5, v70
	v_lshlrev_b32_sdwa v17, v4, v7 dst_sel:DWORD dst_unused:UNUSED_PAD src0_sel:DWORD src1_sel:BYTE_0
	v_lshlrev_b32_sdwa v4, v4, v16 dst_sel:DWORD dst_unused:UNUSED_PAD src0_sel:DWORD src1_sel:BYTE_0
	global_load_dwordx4 v[88:91], v18, s[8:9] offset:176
	global_load_dwordx4 v[92:95], v18, s[8:9] offset:160
	;; [unrolled: 1-line block ×6, first 2 shown]
	ds_read_b64 v[30:31], v72 offset:17280
	ds_read_b64 v[118:119], v78 offset:2160
	v_mul_u32_u24_e32 v5, 0x4b0, v5
	v_mul_u32_u24_e32 v6, 0x4b0, v6
	v_lshlrev_b32_sdwa v7, v39, v7 dst_sel:DWORD dst_unused:UNUSED_PAD src0_sel:DWORD src1_sel:BYTE_0
	v_lshlrev_b32_sdwa v16, v39, v16 dst_sel:DWORD dst_unused:UNUSED_PAD src0_sel:DWORD src1_sel:BYTE_0
	v_add3_u32 v39, 0, v5, v7
	v_add3_u32 v79, 0, v6, v16
	s_mov_b32 s6, 0x3f737871
	s_mov_b32 s12, 0x3f167918
	s_movk_i32 s13, 0x4b0
	s_mov_b32 s10, 0x3e9e377a
	v_add_u32_e32 v33, v45, v33
	v_add_u32_e32 v45, 0x2800, v72
	s_waitcnt vmcnt(9) lgkmcnt(4)
	v_pk_mul_f32 v[6:7], v[68:69], v[8:9] op_sel:[0,1]
	v_mov_b32_e32 v16, v11
	s_waitcnt vmcnt(8) lgkmcnt(2)
	v_pk_mul_f32 v[18:19], v[86:87], v[12:13] op_sel:[0,1]
	v_mov_b32_e32 v20, v15
	v_pk_fma_f32 v[4:5], v[68:69], v[8:9], v[6:7] op_sel:[0,0,1] op_sel_hi:[1,1,0]
	v_pk_fma_f32 v[8:9], v[68:69], v[8:9], v[6:7] op_sel:[0,0,1] op_sel_hi:[1,0,0] neg_lo:[0,0,1] neg_hi:[0,0,1]
	v_pk_mul_f32 v[16:17], v[80:81], v[16:17] op_sel_hi:[1,0]
	v_pk_fma_f32 v[6:7], v[86:87], v[12:13], v[18:19] op_sel:[0,0,1] op_sel_hi:[1,1,0]
	v_pk_fma_f32 v[12:13], v[86:87], v[12:13], v[18:19] op_sel:[0,0,1] op_sel_hi:[1,0,0] neg_lo:[0,0,1] neg_hi:[0,0,1]
	ds_read_b64 v[86:87], v72
	s_waitcnt lgkmcnt(2)
	v_pk_mul_f32 v[18:19], v[30:31], v[20:21] op_sel_hi:[1,0]
	v_mov_b32_e32 v5, v9
	v_pk_fma_f32 v[8:9], v[80:81], v[10:11], v[16:17] op_sel:[0,0,1] op_sel_hi:[1,1,0]
	v_pk_fma_f32 v[10:11], v[80:81], v[10:11], v[16:17] op_sel:[0,0,1] op_sel_hi:[1,0,0] neg_lo:[0,0,1] neg_hi:[0,0,1]
	v_mov_b32_e32 v7, v13
	v_pk_fma_f32 v[12:13], v[30:31], v[14:15], v[18:19] op_sel:[0,0,1] op_sel_hi:[1,1,0]
	v_pk_fma_f32 v[14:15], v[30:31], v[14:15], v[18:19] op_sel:[0,0,1] op_sel_hi:[1,0,0] neg_lo:[0,0,1] neg_hi:[0,0,1]
	v_mov_b32_e32 v9, v11
	v_mov_b32_e32 v13, v15
	v_pk_add_f32 v[16:17], v[8:9], v[6:7]
	v_pk_add_f32 v[10:11], v[4:5], v[12:13] neg_lo:[0,1] neg_hi:[0,1]
	v_pk_add_f32 v[18:19], v[4:5], v[8:9] neg_lo:[0,1] neg_hi:[0,1]
	;; [unrolled: 1-line block ×3, first 2 shown]
	v_pk_fma_f32 v[30:31], v[16:17], 0.5, v[0:1] op_sel_hi:[1,0,1] neg_lo:[1,0,0] neg_hi:[1,0,0]
	v_pk_add_f32 v[14:15], v[8:9], v[6:7] neg_lo:[0,1] neg_hi:[0,1]
	v_pk_add_f32 v[16:17], v[18:19], v[20:21]
	v_pk_fma_f32 v[18:19], v[10:11], s[6:7], v[30:31] op_sel:[1,0,0] op_sel_hi:[0,0,1] neg_lo:[1,0,0] neg_hi:[1,0,0]
	v_pk_fma_f32 v[18:19], v[14:15], s[12:13], v[18:19] op_sel:[1,0,0] op_sel_hi:[0,0,1] neg_lo:[1,0,0] neg_hi:[1,0,0]
	v_pk_fma_f32 v[20:21], v[10:11], s[6:7], v[30:31] op_sel:[1,0,0] op_sel_hi:[0,0,1]
	v_mov_b32_e32 v31, v19
	v_perm_b32 v19, v29, v51, s11
	v_pk_fma_f32 v[20:21], v[14:15], s[12:13], v[20:21] op_sel:[1,0,0] op_sel_hi:[0,0,1]
	v_pk_mul_lo_u16 v19, v19, s13 op_sel_hi:[1,0]
	v_mov_b32_e32 v30, v20
	v_and_b32_e32 v20, 0xfff0, v19
	v_lshlrev_b32_e32 v29, 3, v70
	v_add3_u32 v29, 0, v20, v29
	v_lshlrev_b32_e32 v20, 3, v49
	v_add_u32_e32 v49, 0x2000, v72
	ds_read2_b64 v[68:71], v49 offset0:56 offset1:146
	v_pk_fma_f32 v[52:53], v[16:17], s[10:11], v[30:31] op_sel_hi:[1,0,1]
	v_lshrrev_b32_e32 v19, 16, v19
	v_add_u32_e32 v51, 0x3c00, v72
	s_waitcnt vmcnt(6)
	v_pk_mul_f32 v[30:31], v[66:67], v[58:59] op_sel:[0,1]
	v_add3_u32 v19, 0, v19, v20
	ds_read2_b64 v[112:115], v51 offset0:60 offset1:150
	v_pk_fma_f32 v[80:81], v[66:67], v[58:59], v[30:31] op_sel:[0,0,1] op_sel_hi:[1,1,0]
	v_pk_fma_f32 v[30:31], v[66:67], v[58:59], v[30:31] op_sel:[0,0,1] op_sel_hi:[1,0,0] neg_lo:[0,0,1] neg_hi:[0,0,1]
	v_mov_b32_e32 v20, v61
	v_mov_b32_e32 v81, v31
	s_waitcnt lgkmcnt(1)
	v_pk_mul_f32 v[30:31], v[70:71], v[20:21] op_sel_hi:[1,0]
	v_mov_b32_e32 v20, v57
	v_pk_fma_f32 v[116:117], v[70:71], v[60:61], v[30:31] op_sel:[0,0,1] op_sel_hi:[1,1,0]
	v_pk_fma_f32 v[30:31], v[70:71], v[60:61], v[30:31] op_sel:[0,0,1] op_sel_hi:[1,0,0] neg_lo:[0,0,1] neg_hi:[0,0,1]
	ds_read2_b64 v[58:61], v45 offset0:160 offset1:250
	v_mov_b32_e32 v117, v31
	v_pk_mul_f32 v[30:31], v[84:85], v[54:55] op_sel:[0,1]
	s_nop 0
	v_pk_fma_f32 v[70:71], v[84:85], v[54:55], v[30:31] op_sel:[0,0,1] op_sel_hi:[1,1,0]
	v_pk_fma_f32 v[30:31], v[84:85], v[54:55], v[30:31] op_sel:[0,0,1] op_sel_hi:[1,0,0] neg_lo:[0,0,1] neg_hi:[0,0,1]
	v_pk_add_f32 v[54:55], v[118:119], v[80:81]
	v_mov_b32_e32 v71, v31
	s_waitcnt lgkmcnt(1)
	v_pk_mul_f32 v[30:31], v[114:115], v[20:21] op_sel_hi:[1,0]
	v_pk_add_f32 v[54:55], v[54:55], v[116:117]
	v_pk_fma_f32 v[84:85], v[114:115], v[56:57], v[30:31] op_sel:[0,0,1] op_sel_hi:[1,1,0]
	v_pk_fma_f32 v[30:31], v[114:115], v[56:57], v[30:31] op_sel:[0,0,1] op_sel_hi:[1,0,0] neg_lo:[0,0,1] neg_hi:[0,0,1]
	v_pk_add_f32 v[54:55], v[54:55], v[70:71]
	v_mov_b32_e32 v85, v31
	ds_read_b64 v[30:31], v33
	v_add_u32_e32 v20, 0x1000, v72
	v_pk_add_f32 v[114:115], v[54:55], v[84:85]
	ds_read2_b64 v[54:57], v20 offset0:28 offset1:118
	s_waitcnt vmcnt(4)
	v_mov_b32_e32 v20, v95
	v_pk_mul_f32 v[66:67], v[68:69], v[20:21] op_sel_hi:[1,0]
	v_mov_b32_e32 v20, v91
	v_pk_fma_f32 v[120:121], v[68:69], v[94:95], v[66:67] op_sel:[0,0,1] op_sel_hi:[1,1,0]
	v_pk_fma_f32 v[66:67], v[68:69], v[94:95], v[66:67] op_sel:[0,0,1] op_sel_hi:[1,0,0] neg_lo:[0,0,1] neg_hi:[0,0,1]
	s_waitcnt lgkmcnt(0)
	v_pk_mul_f32 v[68:69], v[56:57], v[92:93] op_sel:[0,1]
	v_mov_b32_e32 v121, v67
	v_pk_fma_f32 v[94:95], v[56:57], v[92:93], v[68:69] op_sel:[0,0,1] op_sel_hi:[1,1,0]
	v_pk_fma_f32 v[56:57], v[56:57], v[92:93], v[68:69] op_sel:[0,0,1] op_sel_hi:[1,0,0] neg_lo:[0,0,1] neg_hi:[0,0,1]
	s_nop 0
	v_mov_b32_e32 v95, v57
	v_pk_mul_f32 v[56:57], v[60:61], v[88:89] op_sel:[0,1]
	s_nop 0
	v_pk_fma_f32 v[92:93], v[60:61], v[88:89], v[56:57] op_sel:[0,0,1] op_sel_hi:[1,1,0]
	v_pk_fma_f32 v[56:57], v[60:61], v[88:89], v[56:57] op_sel:[0,0,1] op_sel_hi:[1,0,0] neg_lo:[0,0,1] neg_hi:[0,0,1]
	s_waitcnt vmcnt(0)
	v_pk_mul_f32 v[88:89], v[54:55], v[108:109] op_sel:[0,1]
	v_mov_b32_e32 v93, v57
	v_pk_mul_f32 v[56:57], v[112:113], v[20:21] op_sel_hi:[1,0]
	v_mov_b32_e32 v20, v111
	v_pk_fma_f32 v[60:61], v[112:113], v[90:91], v[56:57] op_sel:[0,0,1] op_sel_hi:[1,1,0]
	v_pk_fma_f32 v[56:57], v[112:113], v[90:91], v[56:57] op_sel:[0,0,1] op_sel_hi:[1,0,0] neg_lo:[0,0,1] neg_hi:[0,0,1]
	v_add_u32_e32 v112, 0x3800, v72
	ds_read2_b64 v[66:69], v112 offset0:8 offset1:98
	v_pk_fma_f32 v[90:91], v[54:55], v[108:109], v[88:89] op_sel:[0,0,1] op_sel_hi:[1,1,0]
	v_pk_fma_f32 v[54:55], v[54:55], v[108:109], v[88:89] op_sel:[0,0,1] op_sel_hi:[1,0,0] neg_lo:[0,0,1] neg_hi:[0,0,1]
	s_waitcnt lgkmcnt(0)
	v_mov_b32_e32 v91, v55
	v_pk_mul_f32 v[54:55], v[64:65], v[20:21] op_sel_hi:[1,0]
	v_mov_b32_e32 v20, v107
	v_pk_fma_f32 v[88:89], v[64:65], v[110:111], v[54:55] op_sel:[0,0,1] op_sel_hi:[1,1,0]
	v_pk_fma_f32 v[54:55], v[64:65], v[110:111], v[54:55] op_sel:[0,0,1] op_sel_hi:[1,0,0] neg_lo:[0,0,1] neg_hi:[0,0,1]
	s_barrier
	v_mov_b32_e32 v89, v55
	v_pk_mul_f32 v[54:55], v[58:59], v[104:105] op_sel:[0,1]
	s_nop 0
	v_pk_fma_f32 v[64:65], v[58:59], v[104:105], v[54:55] op_sel:[0,0,1] op_sel_hi:[1,1,0]
	v_pk_fma_f32 v[54:55], v[58:59], v[104:105], v[54:55] op_sel:[0,0,1] op_sel_hi:[1,0,0] neg_lo:[0,0,1] neg_hi:[0,0,1]
	v_mov_b32_e32 v61, v57
	v_mov_b32_e32 v65, v55
	v_pk_mul_f32 v[54:55], v[68:69], v[20:21] op_sel_hi:[1,0]
	v_mov_b32_e32 v20, v99
	v_pk_fma_f32 v[58:59], v[68:69], v[106:107], v[54:55] op_sel:[0,0,1] op_sel_hi:[1,1,0]
	v_pk_fma_f32 v[54:55], v[68:69], v[106:107], v[54:55] op_sel:[0,0,1] op_sel_hi:[1,0,0] neg_lo:[0,0,1] neg_hi:[0,0,1]
	v_pk_mul_f32 v[68:69], v[100:101], v[22:23] op_sel:[0,1]
	v_mov_b32_e32 v59, v55
	v_pk_fma_f32 v[104:105], v[100:101], v[22:23], v[68:69] op_sel:[0,0,1] op_sel_hi:[1,1,0]
	v_pk_fma_f32 v[22:23], v[100:101], v[22:23], v[68:69] op_sel:[0,0,1] op_sel_hi:[1,0,0] neg_lo:[1,0,0] neg_hi:[1,0,0]
	v_pk_add_f32 v[54:55], v[30:31], v[90:91]
	v_mov_b32_e32 v105, v23
	v_pk_mul_f32 v[22:23], v[102:103], v[62:63] op_sel:[0,1]
	v_pk_add_f32 v[54:55], v[54:55], v[88:89]
	v_pk_fma_f32 v[68:69], v[102:103], v[62:63], v[22:23] op_sel:[0,0,1] op_sel_hi:[1,1,0]
	v_pk_fma_f32 v[22:23], v[102:103], v[62:63], v[22:23] op_sel:[0,0,1] op_sel_hi:[1,0,0] neg_lo:[1,0,0] neg_hi:[1,0,0]
	v_pk_add_f32 v[54:55], v[54:55], v[64:65]
	v_mov_b32_e32 v69, v23
	v_pk_mul_f32 v[22:23], v[82:83], v[96:97] op_sel:[0,1]
	v_pk_add_f32 v[106:107], v[104:105], v[68:69] neg_lo:[0,1] neg_hi:[0,1]
	v_pk_fma_f32 v[62:63], v[82:83], v[96:97], v[22:23] op_sel:[0,0,1] op_sel_hi:[1,1,0]
	v_pk_fma_f32 v[22:23], v[82:83], v[96:97], v[22:23] op_sel:[0,0,1] op_sel_hi:[1,0,0] neg_lo:[0,0,1] neg_hi:[0,0,1]
	v_pk_add_f32 v[54:55], v[54:55], v[58:59]
	v_mov_b32_e32 v63, v23
	v_pk_mul_f32 v[22:23], v[66:67], v[20:21] op_sel_hi:[1,0]
	v_pk_add_f32 v[100:101], v[68:69], v[62:63] neg_lo:[0,1] neg_hi:[0,1]
	v_pk_fma_f32 v[82:83], v[66:67], v[98:99], v[22:23] op_sel:[0,0,1] op_sel_hi:[1,1,0]
	v_pk_fma_f32 v[22:23], v[66:67], v[98:99], v[22:23] op_sel:[0,0,1] op_sel_hi:[1,0,0] neg_lo:[0,0,1] neg_hi:[0,0,1]
	v_pk_add_f32 v[66:67], v[68:69], v[62:63]
	v_mov_b32_e32 v83, v23
	v_pk_add_f32 v[96:97], v[104:105], v[82:83] neg_lo:[0,1] neg_hi:[0,1]
	v_pk_fma_f32 v[66:67], v[66:67], 0.5, v[86:87] op_sel_hi:[1,0,1] neg_lo:[1,0,0] neg_hi:[1,0,0]
	v_pk_mul_f32 v[98:99], v[96:97], s[6:7] op_sel_hi:[1,0]
	v_pk_add_f32 v[108:109], v[82:83], v[62:63] neg_lo:[0,1] neg_hi:[0,1]
	v_pk_add_f32 v[22:23], v[86:87], v[104:105]
	v_pk_mul_f32 v[102:103], v[100:101], s[12:13] op_sel_hi:[1,0]
	v_pk_add_f32 v[106:107], v[106:107], v[108:109]
	v_pk_add_f32 v[108:109], v[66:67], v[98:99] op_sel:[0,1] op_sel_hi:[1,0] neg_lo:[0,1] neg_hi:[0,1]
	v_pk_add_f32 v[66:67], v[66:67], v[98:99] op_sel:[0,1] op_sel_hi:[1,0]
	v_pk_add_f32 v[22:23], v[22:23], v[68:69]
	v_pk_add_f32 v[66:67], v[66:67], v[102:103] op_sel:[0,1] op_sel_hi:[1,0]
	v_pk_add_f32 v[98:99], v[108:109], v[102:103] op_sel:[0,1] op_sel_hi:[1,0] neg_lo:[0,1] neg_hi:[0,1]
	v_pk_add_f32 v[22:23], v[22:23], v[62:63]
	v_mov_b32_e32 v102, v98
	v_mov_b32_e32 v103, v67
	v_pk_add_f32 v[22:23], v[22:23], v[82:83]
	v_pk_fma_f32 v[102:103], v[106:107], s[10:11], v[102:103] op_sel_hi:[1,0,1]
	ds_write2_b64 v39, v[22:23], v[102:103] offset1:30
	v_pk_add_f32 v[22:23], v[104:105], v[82:83]
	v_pk_add_f32 v[68:69], v[68:69], v[104:105] neg_lo:[0,1] neg_hi:[0,1]
	v_pk_add_f32 v[62:63], v[62:63], v[82:83] neg_lo:[0,1] neg_hi:[0,1]
	v_pk_fma_f32 v[22:23], v[22:23], 0.5, v[86:87] op_sel_hi:[1,0,1] neg_lo:[1,0,0] neg_hi:[1,0,0]
	v_pk_add_f32 v[62:63], v[68:69], v[62:63]
	v_pk_mul_f32 v[68:69], v[100:101], s[6:7] op_sel_hi:[1,0]
	v_pk_mul_f32 v[82:83], v[96:97], s[12:13] op_sel_hi:[1,0]
	v_pk_add_f32 v[86:87], v[22:23], v[68:69] op_sel:[0,1] op_sel_hi:[1,0]
	v_pk_add_f32 v[22:23], v[22:23], v[68:69] op_sel:[0,1] op_sel_hi:[1,0] neg_lo:[0,1] neg_hi:[0,1]
	v_pk_add_f32 v[68:69], v[86:87], v[82:83] op_sel:[0,1] op_sel_hi:[1,0] neg_lo:[0,1] neg_hi:[0,1]
	v_pk_add_f32 v[22:23], v[22:23], v[82:83] op_sel:[0,1] op_sel_hi:[1,0]
	v_mov_b32_e32 v82, v68
	v_mov_b32_e32 v83, v23
	;; [unrolled: 1-line block ×3, first 2 shown]
	v_pk_fma_f32 v[82:83], v[62:63], s[10:11], v[82:83] op_sel_hi:[1,0,1]
	v_pk_fma_f32 v[22:23], v[62:63], s[10:11], v[22:23] op_sel_hi:[1,0,1]
	v_mov_b32_e32 v67, v99
	ds_write2_b64 v39, v[82:83], v[22:23] offset0:60 offset1:90
	v_pk_fma_f32 v[22:23], v[106:107], s[10:11], v[66:67] op_sel_hi:[1,0,1]
	ds_write_b64 v39, v[22:23] offset:960
	v_pk_add_f32 v[22:23], v[88:89], v[64:65]
	v_pk_add_f32 v[62:63], v[90:91], v[58:59] neg_lo:[0,1] neg_hi:[0,1]
	v_pk_fma_f32 v[22:23], v[22:23], 0.5, v[30:31] op_sel_hi:[1,0,1] neg_lo:[1,0,0] neg_hi:[1,0,0]
	v_pk_mul_f32 v[66:67], v[62:63], s[6:7] op_sel_hi:[1,0]
	v_pk_add_f32 v[68:69], v[88:89], v[64:65] neg_lo:[0,1] neg_hi:[0,1]
	v_pk_add_f32 v[86:87], v[90:91], v[88:89] neg_lo:[0,1] neg_hi:[0,1]
	;; [unrolled: 1-line block ×3, first 2 shown]
	v_pk_mul_f32 v[82:83], v[68:69], s[12:13] op_sel_hi:[1,0]
	v_pk_add_f32 v[86:87], v[86:87], v[96:97]
	v_pk_add_f32 v[96:97], v[22:23], v[66:67] op_sel:[0,1] op_sel_hi:[1,0] neg_lo:[0,1] neg_hi:[0,1]
	v_pk_add_f32 v[22:23], v[22:23], v[66:67] op_sel:[0,1] op_sel_hi:[1,0]
	v_pk_add_f32 v[66:67], v[96:97], v[82:83] op_sel:[0,1] op_sel_hi:[1,0] neg_lo:[0,1] neg_hi:[0,1]
	v_pk_add_f32 v[22:23], v[22:23], v[82:83] op_sel:[0,1] op_sel_hi:[1,0]
	v_mov_b32_e32 v82, v66
	v_mov_b32_e32 v83, v23
	v_pk_fma_f32 v[82:83], v[86:87], s[10:11], v[82:83] op_sel_hi:[1,0,1]
	ds_write2_b64 v79, v[54:55], v[82:83] offset1:30
	v_pk_add_f32 v[54:55], v[90:91], v[58:59]
	v_pk_add_f32 v[58:59], v[64:65], v[58:59] neg_lo:[0,1] neg_hi:[0,1]
	v_pk_fma_f32 v[30:31], v[54:55], 0.5, v[30:31] op_sel_hi:[1,0,1] neg_lo:[1,0,0] neg_hi:[1,0,0]
	v_pk_add_f32 v[54:55], v[88:89], v[90:91] neg_lo:[0,1] neg_hi:[0,1]
	v_pk_mul_f32 v[62:63], v[62:63], s[12:13] op_sel_hi:[1,0]
	v_pk_add_f32 v[54:55], v[54:55], v[58:59]
	v_pk_mul_f32 v[58:59], v[68:69], s[6:7] op_sel_hi:[1,0]
	v_mov_b32_e32 v23, v67
	v_pk_add_f32 v[64:65], v[30:31], v[58:59] op_sel:[0,1] op_sel_hi:[1,0]
	v_pk_add_f32 v[30:31], v[30:31], v[58:59] op_sel:[0,1] op_sel_hi:[1,0] neg_lo:[0,1] neg_hi:[0,1]
	v_pk_add_f32 v[58:59], v[64:65], v[62:63] op_sel:[0,1] op_sel_hi:[1,0] neg_lo:[0,1] neg_hi:[0,1]
	v_pk_add_f32 v[30:31], v[30:31], v[62:63] op_sel:[0,1] op_sel_hi:[1,0]
	v_mov_b32_e32 v62, v58
	v_mov_b32_e32 v63, v31
	;; [unrolled: 1-line block ×3, first 2 shown]
	v_pk_fma_f32 v[62:63], v[54:55], s[10:11], v[62:63] op_sel_hi:[1,0,1]
	v_pk_fma_f32 v[30:31], v[54:55], s[10:11], v[30:31] op_sel_hi:[1,0,1]
	;; [unrolled: 1-line block ×3, first 2 shown]
	ds_write2_b64 v79, v[62:63], v[30:31] offset0:60 offset1:90
	ds_write_b64 v79, v[22:23] offset:960
	v_pk_add_f32 v[22:23], v[120:121], v[92:93]
	v_pk_add_f32 v[30:31], v[94:95], v[60:61] neg_lo:[0,1] neg_hi:[0,1]
	v_pk_fma_f32 v[22:23], v[22:23], 0.5, v[2:3] op_sel_hi:[1,0,1] neg_lo:[1,0,0] neg_hi:[1,0,0]
	v_pk_mul_f32 v[54:55], v[30:31], s[6:7] op_sel_hi:[1,0]
	v_pk_add_f32 v[58:59], v[120:121], v[92:93] neg_lo:[0,1] neg_hi:[0,1]
	v_pk_add_f32 v[64:65], v[94:95], v[120:121] neg_lo:[0,1] neg_hi:[0,1]
	v_pk_add_f32 v[66:67], v[60:61], v[92:93] neg_lo:[0,1] neg_hi:[0,1]
	v_pk_add_f32 v[56:57], v[2:3], v[94:95]
	v_pk_mul_f32 v[62:63], v[58:59], s[12:13] op_sel_hi:[1,0]
	v_pk_add_f32 v[64:65], v[64:65], v[66:67]
	v_pk_add_f32 v[66:67], v[22:23], v[54:55] op_sel:[0,1] op_sel_hi:[1,0] neg_lo:[0,1] neg_hi:[0,1]
	v_pk_add_f32 v[22:23], v[22:23], v[54:55] op_sel:[0,1] op_sel_hi:[1,0]
	v_pk_add_f32 v[56:57], v[56:57], v[120:121]
	v_pk_add_f32 v[22:23], v[22:23], v[62:63] op_sel:[0,1] op_sel_hi:[1,0]
	v_pk_add_f32 v[54:55], v[66:67], v[62:63] op_sel:[0,1] op_sel_hi:[1,0] neg_lo:[0,1] neg_hi:[0,1]
	v_pk_add_f32 v[56:57], v[56:57], v[92:93]
	v_mov_b32_e32 v62, v54
	v_mov_b32_e32 v63, v23
	v_pk_add_f32 v[56:57], v[56:57], v[60:61]
	v_pk_fma_f32 v[62:63], v[64:65], s[10:11], v[62:63] op_sel_hi:[1,0,1]
	ds_write2_b64 v29, v[56:57], v[62:63] offset1:30
	v_pk_add_f32 v[56:57], v[94:95], v[60:61]
	v_pk_add_f32 v[60:61], v[92:93], v[60:61] neg_lo:[0,1] neg_hi:[0,1]
	v_pk_fma_f32 v[2:3], v[56:57], 0.5, v[2:3] op_sel_hi:[1,0,1] neg_lo:[1,0,0] neg_hi:[1,0,0]
	v_pk_add_f32 v[56:57], v[120:121], v[94:95] neg_lo:[0,1] neg_hi:[0,1]
	v_pk_mul_f32 v[58:59], v[58:59], s[6:7] op_sel_hi:[1,0]
	v_pk_add_f32 v[56:57], v[56:57], v[60:61]
	v_pk_mul_f32 v[30:31], v[30:31], s[12:13] op_sel_hi:[1,0]
	v_pk_add_f32 v[60:61], v[2:3], v[58:59] op_sel:[0,1] op_sel_hi:[1,0]
	v_pk_add_f32 v[2:3], v[2:3], v[58:59] op_sel:[0,1] op_sel_hi:[1,0] neg_lo:[0,1] neg_hi:[0,1]
	v_mov_b32_e32 v23, v55
	v_pk_add_f32 v[2:3], v[2:3], v[30:31] op_sel:[0,1] op_sel_hi:[1,0]
	v_pk_add_f32 v[30:31], v[60:61], v[30:31] op_sel:[0,1] op_sel_hi:[1,0] neg_lo:[0,1] neg_hi:[0,1]
	v_mov_b32_e32 v59, v3
	v_mov_b32_e32 v58, v30
	;; [unrolled: 1-line block ×3, first 2 shown]
	v_pk_fma_f32 v[58:59], v[56:57], s[10:11], v[58:59] op_sel_hi:[1,0,1]
	v_pk_fma_f32 v[2:3], v[56:57], s[10:11], v[2:3] op_sel_hi:[1,0,1]
	ds_write2_b64 v29, v[58:59], v[2:3] offset0:60 offset1:90
	v_pk_fma_f32 v[2:3], v[64:65], s[10:11], v[22:23] op_sel_hi:[1,0,1]
	ds_write_b64 v29, v[2:3] offset:960
	v_pk_add_f32 v[2:3], v[116:117], v[70:71]
	v_pk_add_f32 v[22:23], v[80:81], v[84:85] neg_lo:[0,1] neg_hi:[0,1]
	v_pk_fma_f32 v[2:3], v[2:3], 0.5, v[118:119] op_sel_hi:[1,0,1] neg_lo:[1,0,0] neg_hi:[1,0,0]
	v_pk_mul_f32 v[30:31], v[22:23], s[6:7] op_sel_hi:[1,0]
	v_pk_add_f32 v[54:55], v[116:117], v[70:71] neg_lo:[0,1] neg_hi:[0,1]
	v_pk_add_f32 v[58:59], v[80:81], v[116:117] neg_lo:[0,1] neg_hi:[0,1]
	;; [unrolled: 1-line block ×3, first 2 shown]
	v_pk_mul_f32 v[56:57], v[54:55], s[12:13] op_sel_hi:[1,0]
	v_pk_add_f32 v[58:59], v[58:59], v[60:61]
	v_pk_add_f32 v[60:61], v[2:3], v[30:31] op_sel:[0,1] op_sel_hi:[1,0] neg_lo:[0,1] neg_hi:[0,1]
	v_pk_add_f32 v[2:3], v[2:3], v[30:31] op_sel:[0,1] op_sel_hi:[1,0]
	v_pk_add_f32 v[30:31], v[60:61], v[56:57] op_sel:[0,1] op_sel_hi:[1,0] neg_lo:[0,1] neg_hi:[0,1]
	v_pk_add_f32 v[2:3], v[2:3], v[56:57] op_sel:[0,1] op_sel_hi:[1,0]
	v_mov_b32_e32 v56, v30
	v_mov_b32_e32 v57, v3
	v_pk_fma_f32 v[56:57], v[58:59], s[10:11], v[56:57] op_sel_hi:[1,0,1]
	ds_write2_b64 v19, v[114:115], v[56:57] offset1:30
	v_pk_add_f32 v[56:57], v[80:81], v[84:85]
	v_pk_add_f32 v[60:61], v[116:117], v[80:81] neg_lo:[0,1] neg_hi:[0,1]
	v_pk_fma_f32 v[56:57], v[56:57], 0.5, v[118:119] op_sel_hi:[1,0,1] neg_lo:[1,0,0] neg_hi:[1,0,0]
	v_pk_add_f32 v[62:63], v[70:71], v[84:85] neg_lo:[0,1] neg_hi:[0,1]
	v_pk_mul_f32 v[54:55], v[54:55], s[6:7] op_sel_hi:[1,0]
	v_mov_b32_e32 v3, v31
	v_pk_add_f32 v[60:61], v[60:61], v[62:63]
	v_pk_mul_f32 v[22:23], v[22:23], s[12:13] op_sel_hi:[1,0]
	v_pk_add_f32 v[62:63], v[56:57], v[54:55] op_sel:[0,1] op_sel_hi:[1,0]
	v_pk_add_f32 v[54:55], v[56:57], v[54:55] op_sel:[0,1] op_sel_hi:[1,0] neg_lo:[0,1] neg_hi:[0,1]
	v_pk_fma_f32 v[2:3], v[58:59], s[10:11], v[2:3] op_sel_hi:[1,0,1]
	v_pk_add_f32 v[54:55], v[54:55], v[22:23] op_sel:[0,1] op_sel_hi:[1,0]
	v_pk_add_f32 v[22:23], v[62:63], v[22:23] op_sel:[0,1] op_sel_hi:[1,0] neg_lo:[0,1] neg_hi:[0,1]
	ds_write_b64 v19, v[2:3] offset:960
	v_mul_u32_u24_e32 v2, 0x4b0, v27
	v_lshlrev_b32_e32 v3, 3, v28
	v_mov_b32_e32 v56, v22
	v_mov_b32_e32 v57, v55
	;; [unrolled: 1-line block ×3, first 2 shown]
	v_add3_u32 v20, 0, v2, v3
	v_pk_add_f32 v[2:3], v[0:1], v[4:5]
	v_pk_fma_f32 v[56:57], v[60:61], s[10:11], v[56:57] op_sel_hi:[1,0,1]
	v_pk_fma_f32 v[22:23], v[60:61], s[10:11], v[54:55] op_sel_hi:[1,0,1]
	v_pk_add_f32 v[2:3], v[2:3], v[8:9]
	ds_write2_b64 v19, v[56:57], v[22:23] offset0:60 offset1:90
	v_pk_add_f32 v[2:3], v[2:3], v[6:7]
	v_mov_b32_e32 v19, v21
	v_pk_add_f32 v[2:3], v[2:3], v[12:13]
	v_pk_fma_f32 v[16:17], v[16:17], s[10:11], v[18:19] op_sel_hi:[1,0,1]
	ds_write2_b64 v20, v[2:3], v[16:17] offset1:30
	v_pk_add_f32 v[2:3], v[4:5], v[12:13]
	s_nop 0
	v_pk_fma_f32 v[0:1], v[2:3], 0.5, v[0:1] op_sel_hi:[1,0,1] neg_lo:[1,0,0] neg_hi:[1,0,0]
	v_pk_add_f32 v[2:3], v[8:9], v[4:5] neg_lo:[0,1] neg_hi:[0,1]
	v_pk_add_f32 v[4:5], v[6:7], v[12:13] neg_lo:[0,1] neg_hi:[0,1]
	s_nop 0
	v_pk_add_f32 v[2:3], v[2:3], v[4:5]
	v_pk_fma_f32 v[4:5], v[14:15], s[6:7], v[0:1] op_sel:[1,0,0] op_sel_hi:[0,0,1]
	v_pk_fma_f32 v[0:1], v[14:15], s[6:7], v[0:1] op_sel:[1,0,0] op_sel_hi:[0,0,1] neg_lo:[1,0,0] neg_hi:[1,0,0]
	v_pk_fma_f32 v[0:1], v[10:11], s[12:13], v[0:1] op_sel:[1,0,0] op_sel_hi:[0,0,1]
	v_pk_fma_f32 v[4:5], v[10:11], s[12:13], v[4:5] op_sel:[1,0,0] op_sel_hi:[0,0,1] neg_lo:[1,0,0] neg_hi:[1,0,0]
	v_mov_b32_e32 v6, v4
	v_mov_b32_e32 v7, v1
	;; [unrolled: 1-line block ×3, first 2 shown]
	v_pk_fma_f32 v[6:7], v[2:3], s[10:11], v[6:7] op_sel_hi:[1,0,1]
	v_pk_fma_f32 v[0:1], v[2:3], s[10:11], v[0:1] op_sel_hi:[1,0,1]
	ds_write2_b64 v20, v[6:7], v[0:1] offset0:60 offset1:90
	ds_write_b64 v20, v[52:53] offset:960
	v_add_u32_e32 v0, 0x2c00, v72
	s_waitcnt lgkmcnt(0)
	s_barrier
	ds_read2_b64 v[20:23], v26 offset0:110 offset1:200
	ds_read2_b64 v[16:19], v0 offset0:92 offset1:182
	;; [unrolled: 1-line block ×6, first 2 shown]
	ds_read_b64 v[66:67], v77
	ds_read_b64 v[62:63], v76
	;; [unrolled: 1-line block ×4, first 2 shown]
	ds_read2_b64 v[4:7], v45 offset0:10 offset1:100
	ds_read2_b64 v[0:3], v51 offset0:120 offset1:210
	ds_read_b64 v[70:71], v72
	ds_read_b64 v[64:65], v78 offset:2160
	ds_read_b64 v[68:69], v33
	ds_read_b64 v[56:57], v73
	s_and_saveexec_b64 s[6:7], s[4:5]
	s_xor_b64 s[4:5], exec, s[6:7]
	s_andn2_saveexec_b64 s[4:5], s[4:5]
	s_cbranch_execz .LBB0_21
; %bb.20:
	ds_read_b64 v[54:55], v72 offset:17760
	ds_read_b64 v[42:43], v72 offset:11760
	;; [unrolled: 1-line block ×3, first 2 shown]
	s_waitcnt lgkmcnt(2)
	v_mov_b32_e32 v40, v54
	s_waitcnt lgkmcnt(1)
	v_mov_b32_e32 v41, v43
	v_mov_b32_e32 v43, v55
.LBB0_21:
	s_or_b64 exec, exec, s[4:5]
	v_lshrrev_b16_e32 v39, 1, v35
	v_mul_u32_u24_e32 v39, 0xda75, v39
	v_lshlrev_b32_e32 v54, 1, v44
	v_mov_b32_e32 v55, 0
	v_lshrrev_b32_e32 v39, 22, v39
	v_lshl_add_u64 v[80:81], v[54:55], 3, s[8:9]
	v_mul_lo_u16_e32 v45, 0x96, v39
	global_load_dwordx4 v[80:83], v[80:81], off offset:1120
	v_sub_u16_e32 v45, v35, v45
	v_lshlrev_b32_e32 v49, 4, v45
	global_load_dwordx4 v[84:87], v49, s[8:9] offset:1120
	v_add_u32_e32 v54, 60, v54
	v_subrev_u32_e32 v49, 60, v44
	v_cmp_gt_u32_e64 s[4:5], 60, v44
	v_lshl_add_u64 v[88:89], v[54:55], 3, s[8:9]
	global_load_dwordx4 v[88:91], v[88:89], off offset:1120
	v_cndmask_b32_e64 v49, v49, v48, s[4:5]
	v_mov_b32_e32 v93, v55
	v_lshlrev_b32_e32 v92, 1, v49
	v_lshl_add_u64 v[92:93], v[92:93], 3, s[8:9]
	global_load_dwordx4 v[92:95], v[92:93], off offset:1120
	v_lshrrev_b16_e32 v51, 1, v38
	v_lshrrev_b16_e32 v54, 1, v36
	;; [unrolled: 1-line block ×4, first 2 shown]
	v_mul_u32_u24_e32 v51, 0xda75, v51
	v_mul_u32_u24_e32 v54, 0xda75, v54
	;; [unrolled: 1-line block ×4, first 2 shown]
	v_lshrrev_b32_e32 v51, 22, v51
	v_lshrrev_b32_e32 v54, 22, v54
	;; [unrolled: 1-line block ×4, first 2 shown]
	v_mul_lo_u16_e32 v51, 0x96, v51
	v_mov_b32_e32 v97, 0xe10
	v_cmp_lt_u32_e64 s[4:5], 59, v44
	v_mul_lo_u16_e32 v54, 0x96, v54
	v_mul_lo_u16_e32 v98, 0x96, v79
	v_mul_lo_u16_e32 v96, 0x96, v96
	v_sub_u16_e32 v51, v38, v51
	v_cndmask_b32_e64 v97, 0, v97, s[4:5]
	v_lshlrev_b32_e32 v49, 3, v49
	v_sub_u16_e32 v118, v36, v54
	v_sub_u16_e32 v119, v34, v98
	v_sub_u16_e32 v120, v32, v96
	v_lshlrev_b32_e32 v54, 4, v51
	v_add3_u32 v49, 0, v97, v49
	v_lshlrev_b32_e32 v112, 4, v118
	v_lshlrev_b32_e32 v113, 4, v119
	;; [unrolled: 1-line block ×3, first 2 shown]
	global_load_dwordx4 v[96:99], v54, s[8:9] offset:1120
	global_load_dwordx4 v[100:103], v112, s[8:9] offset:1120
	global_load_dwordx4 v[104:107], v113, s[8:9] offset:1120
	global_load_dwordx4 v[108:111], v114, s[8:9] offset:1120
	s_mov_b32 s6, 0x3f5db3d7
	s_waitcnt lgkmcnt(0)
	s_barrier
	v_mul_u32_u24_e32 v39, 0xe10, v39
	v_lshlrev_b32_e32 v45, 3, v45
	v_add3_u32 v39, 0, v39, v45
	s_waitcnt vmcnt(7)
	v_pk_mul_f32 v[112:113], v[80:81], v[20:21] op_sel:[0,1]
	v_pk_mul_f32 v[114:115], v[82:83], v[16:17] op_sel:[0,1]
	v_pk_fma_f32 v[116:117], v[80:81], v[20:21], v[112:113] op_sel:[0,0,1] op_sel_hi:[1,1,0]
	v_pk_fma_f32 v[20:21], v[80:81], v[20:21], v[112:113] op_sel:[0,0,1] op_sel_hi:[1,0,0] neg_lo:[1,0,0] neg_hi:[1,0,0]
	v_pk_fma_f32 v[80:81], v[82:83], v[16:17], v[114:115] op_sel:[0,0,1] op_sel_hi:[1,1,0]
	v_pk_fma_f32 v[16:17], v[82:83], v[16:17], v[114:115] op_sel:[0,0,1] op_sel_hi:[1,0,0] neg_lo:[1,0,0] neg_hi:[1,0,0]
	v_mov_b32_e32 v117, v21
	v_mov_b32_e32 v81, v17
	v_pk_add_f32 v[16:17], v[70:71], v[116:117]
	v_pk_add_f32 v[20:21], v[116:117], v[80:81]
	v_pk_add_f32 v[82:83], v[116:117], v[80:81] neg_lo:[0,1] neg_hi:[0,1]
	s_waitcnt vmcnt(6)
	v_pk_mul_f32 v[112:113], v[84:85], v[30:31] op_sel:[0,1]
	v_pk_add_f32 v[16:17], v[16:17], v[80:81]
	v_pk_fma_f32 v[20:21], v[20:21], 0.5, v[70:71] op_sel_hi:[1,0,1] neg_lo:[1,0,0] neg_hi:[1,0,0]
	v_pk_mul_f32 v[70:71], v[82:83], s[6:7] op_sel_hi:[1,0]
	s_waitcnt vmcnt(5)
	v_pk_mul_f32 v[80:81], v[88:89], v[28:29] op_sel:[0,1]
	v_pk_fma_f32 v[114:115], v[84:85], v[30:31], v[112:113] op_sel:[0,0,1] op_sel_hi:[1,1,0]
	v_pk_fma_f32 v[30:31], v[84:85], v[30:31], v[112:113] op_sel:[0,0,1] op_sel_hi:[1,0,0] neg_lo:[1,0,0] neg_hi:[1,0,0]
	v_pk_add_f32 v[112:113], v[20:21], v[70:71] op_sel:[0,1] op_sel_hi:[1,0] neg_lo:[0,1] neg_hi:[0,1]
	v_pk_add_f32 v[20:21], v[20:21], v[70:71] op_sel:[0,1] op_sel_hi:[1,0]
	v_pk_fma_f32 v[70:71], v[88:89], v[28:29], v[80:81] op_sel:[0,0,1] op_sel_hi:[1,1,0]
	v_pk_fma_f32 v[28:29], v[88:89], v[28:29], v[80:81] op_sel:[0,0,1] op_sel_hi:[1,0,0] neg_lo:[1,0,0] neg_hi:[1,0,0]
	v_pk_mul_f32 v[82:83], v[90:91], v[24:25] op_sel:[0,1]
	v_mov_b32_e32 v71, v29
	s_waitcnt vmcnt(4)
	v_pk_mul_f32 v[28:29], v[92:93], v[22:23] op_sel:[0,1]
	v_pk_fma_f32 v[80:81], v[90:91], v[24:25], v[82:83] op_sel:[0,0,1] op_sel_hi:[1,1,0]
	v_pk_fma_f32 v[24:25], v[90:91], v[24:25], v[82:83] op_sel:[0,0,1] op_sel_hi:[1,0,0] neg_lo:[1,0,0] neg_hi:[1,0,0]
	v_pk_fma_f32 v[82:83], v[92:93], v[22:23], v[28:29] op_sel:[0,0,1] op_sel_hi:[1,1,0]
	v_pk_fma_f32 v[22:23], v[92:93], v[22:23], v[28:29] op_sel:[0,0,1] op_sel_hi:[1,0,0] neg_lo:[1,0,0] neg_hi:[1,0,0]
	v_mov_b32_e32 v81, v25
	v_mov_b32_e32 v83, v23
	v_pk_mul_f32 v[22:23], v[94:95], v[18:19] op_sel:[0,1]
	v_mov_b32_e32 v54, v87
	v_pk_fma_f32 v[28:29], v[94:95], v[18:19], v[22:23] op_sel:[0,0,1] op_sel_hi:[1,1,0]
	v_pk_fma_f32 v[18:19], v[94:95], v[18:19], v[22:23] op_sel:[0,0,1] op_sel_hi:[1,0,0] neg_lo:[1,0,0] neg_hi:[1,0,0]
	v_mov_b32_e32 v22, v112
	v_mov_b32_e32 v29, v19
	;; [unrolled: 1-line block ×4, first 2 shown]
	ds_write2_b64 v72, v[16:17], v[22:23] offset1:150
	ds_write_b64 v72, v[20:21] offset:2400
	v_pk_add_f32 v[16:17], v[82:83], v[28:29]
	v_pk_add_f32 v[20:21], v[82:83], v[28:29] neg_lo:[0,1] neg_hi:[0,1]
	v_pk_fma_f32 v[16:17], v[16:17], 0.5, v[68:69] op_sel_hi:[1,0,1] neg_lo:[1,0,0] neg_hi:[1,0,0]
	v_pk_mul_f32 v[20:21], v[20:21], s[6:7] op_sel_hi:[1,0]
	v_pk_add_f32 v[18:19], v[68:69], v[82:83]
	v_pk_add_f32 v[22:23], v[16:17], v[20:21] op_sel:[0,1] op_sel_hi:[1,0] neg_lo:[0,1] neg_hi:[0,1]
	v_pk_add_f32 v[16:17], v[16:17], v[20:21] op_sel:[0,1] op_sel_hi:[1,0]
	v_pk_add_f32 v[18:19], v[18:19], v[28:29]
	v_mov_b32_e32 v20, v22
	v_mov_b32_e32 v21, v17
	;; [unrolled: 1-line block ×3, first 2 shown]
	ds_write2_b64 v49, v[18:19], v[20:21] offset1:150
	ds_write_b64 v49, v[16:17] offset:2400
	v_pk_add_f32 v[16:17], v[70:71], v[80:81]
	v_pk_add_f32 v[18:19], v[70:71], v[80:81] neg_lo:[0,1] neg_hi:[0,1]
	v_pk_fma_f32 v[16:17], v[16:17], 0.5, v[66:67] op_sel_hi:[1,0,1] neg_lo:[1,0,0] neg_hi:[1,0,0]
	v_pk_mul_f32 v[18:19], v[18:19], s[6:7] op_sel_hi:[1,0]
	v_pk_mul_f32 v[84:85], v[26:27], v[54:55] op_sel_hi:[1,0]
	v_pk_add_f32 v[24:25], v[66:67], v[70:71]
	v_pk_add_f32 v[20:21], v[16:17], v[18:19] op_sel:[0,1] op_sel_hi:[1,0] neg_lo:[0,1] neg_hi:[0,1]
	v_pk_add_f32 v[16:17], v[16:17], v[18:19] op_sel:[0,1] op_sel_hi:[1,0]
	v_mov_b32_e32 v115, v31
	v_pk_fma_f32 v[30:31], v[26:27], v[86:87], v[84:85] op_sel:[0,0,1] op_sel_hi:[1,1,0]
	v_pk_fma_f32 v[26:27], v[26:27], v[86:87], v[84:85] op_sel:[0,0,1] op_sel_hi:[1,0,0] neg_lo:[0,0,1] neg_hi:[0,0,1]
	v_pk_add_f32 v[24:25], v[24:25], v[80:81]
	v_mov_b32_e32 v18, v20
	v_mov_b32_e32 v19, v17
	v_add_u32_e32 v17, 0xc00, v72
	v_mov_b32_e32 v31, v27
	ds_write2_b64 v17, v[24:25], v[18:19] offset0:96 offset1:246
	v_mov_b32_e32 v17, v21
	ds_write_b64 v72, v[16:17] offset:6240
	v_pk_add_f32 v[16:17], v[114:115], v[30:31]
	v_pk_add_f32 v[18:19], v[114:115], v[30:31] neg_lo:[0,1] neg_hi:[0,1]
	v_pk_fma_f32 v[16:17], v[16:17], 0.5, v[64:65] op_sel_hi:[1,0,1] neg_lo:[1,0,0] neg_hi:[1,0,0]
	v_pk_mul_f32 v[18:19], v[18:19], s[6:7] op_sel_hi:[1,0]
	v_pk_add_f32 v[26:27], v[64:65], v[114:115]
	v_pk_add_f32 v[20:21], v[16:17], v[18:19] op_sel:[0,1] op_sel_hi:[1,0] neg_lo:[0,1] neg_hi:[0,1]
	v_pk_add_f32 v[16:17], v[16:17], v[18:19] op_sel:[0,1] op_sel_hi:[1,0]
	v_pk_add_f32 v[26:27], v[26:27], v[30:31]
	v_mov_b32_e32 v19, v17
	v_mov_b32_e32 v17, v21
	;; [unrolled: 1-line block ×3, first 2 shown]
	ds_write_b64 v39, v[16:17] offset:2400
	s_waitcnt vmcnt(3)
	v_pk_mul_f32 v[16:17], v[12:13], v[96:97] op_sel:[0,1]
	ds_write2_b64 v39, v[26:27], v[18:19] offset1:150
	v_pk_fma_f32 v[18:19], v[12:13], v[96:97], v[16:17] op_sel:[0,0,1] op_sel_hi:[1,1,0]
	v_pk_fma_f32 v[12:13], v[12:13], v[96:97], v[16:17] op_sel:[0,0,1] op_sel_hi:[1,0,0] neg_lo:[0,0,1] neg_hi:[0,0,1]
	v_lshl_add_u32 v20, v51, 3, 0
	v_mov_b32_e32 v12, v99
	v_mov_b32_e32 v19, v13
	v_pk_mul_f32 v[12:13], v[8:9], v[12:13] op_sel_hi:[1,0]
	s_nop 0
	v_pk_fma_f32 v[16:17], v[8:9], v[98:99], v[12:13] op_sel:[0,0,1] op_sel_hi:[1,1,0]
	v_pk_fma_f32 v[8:9], v[8:9], v[98:99], v[12:13] op_sel:[0,0,1] op_sel_hi:[1,0,0] neg_lo:[0,0,1] neg_hi:[0,0,1]
	s_nop 0
	v_mov_b32_e32 v17, v9
	v_pk_add_f32 v[8:9], v[62:63], v[18:19]
	v_pk_add_f32 v[12:13], v[18:19], v[16:17]
	v_pk_add_f32 v[8:9], v[8:9], v[16:17]
	v_pk_add_f32 v[16:17], v[18:19], v[16:17] neg_lo:[0,1] neg_hi:[0,1]
	v_pk_fma_f32 v[12:13], v[12:13], 0.5, v[62:63] op_sel_hi:[1,0,1] neg_lo:[1,0,0] neg_hi:[1,0,0]
	v_pk_mul_f32 v[16:17], v[16:17], s[6:7] op_sel_hi:[1,0]
	s_nop 0
	v_pk_add_f32 v[18:19], v[12:13], v[16:17] op_sel:[0,1] op_sel_hi:[1,0] neg_lo:[0,1] neg_hi:[0,1]
	v_pk_add_f32 v[12:13], v[12:13], v[16:17] op_sel:[0,1] op_sel_hi:[1,0]
	v_mov_b32_e32 v16, v18
	v_mov_b32_e32 v17, v13
	v_add_u32_e32 v13, 0x1c00, v20
	ds_write2_b64 v13, v[8:9], v[16:17] offset0:4 offset1:154
	v_mov_b32_e32 v13, v19
	s_waitcnt vmcnt(2)
	v_pk_mul_f32 v[8:9], v[14:15], v[100:101] op_sel:[0,1]
	ds_write_b64 v20, v[12:13] offset:9600
	v_pk_fma_f32 v[12:13], v[14:15], v[100:101], v[8:9] op_sel:[0,0,1] op_sel_hi:[1,1,0]
	v_pk_fma_f32 v[8:9], v[14:15], v[100:101], v[8:9] op_sel:[0,0,1] op_sel_hi:[1,0,0] neg_lo:[0,0,1] neg_hi:[0,0,1]
	v_lshl_add_u32 v16, v118, 3, 0
	v_mov_b32_e32 v8, v103
	v_mov_b32_e32 v13, v9
	v_pk_mul_f32 v[8:9], v[10:11], v[8:9] op_sel_hi:[1,0]
	s_nop 0
	v_pk_fma_f32 v[14:15], v[10:11], v[102:103], v[8:9] op_sel:[0,0,1] op_sel_hi:[1,1,0]
	v_pk_fma_f32 v[8:9], v[10:11], v[102:103], v[8:9] op_sel:[0,0,1] op_sel_hi:[1,0,0] neg_lo:[0,0,1] neg_hi:[0,0,1]
	s_nop 0
	v_mov_b32_e32 v15, v9
	v_pk_add_f32 v[8:9], v[60:61], v[12:13]
	v_pk_add_f32 v[10:11], v[12:13], v[14:15]
	v_pk_add_f32 v[12:13], v[12:13], v[14:15] neg_lo:[0,1] neg_hi:[0,1]
	v_pk_fma_f32 v[10:11], v[10:11], 0.5, v[60:61] op_sel_hi:[1,0,1] neg_lo:[1,0,0] neg_hi:[1,0,0]
	v_pk_mul_f32 v[12:13], v[12:13], s[6:7] op_sel_hi:[1,0]
	v_pk_add_f32 v[8:9], v[8:9], v[14:15]
	v_pk_add_f32 v[14:15], v[10:11], v[12:13] op_sel:[0,1] op_sel_hi:[1,0] neg_lo:[0,1] neg_hi:[0,1]
	v_pk_add_f32 v[10:11], v[10:11], v[12:13] op_sel:[0,1] op_sel_hi:[1,0]
	v_mov_b32_e32 v12, v14
	v_mov_b32_e32 v13, v11
	v_add_u32_e32 v11, 0x2800, v16
	ds_write2_b64 v11, v[8:9], v[12:13] offset0:70 offset1:220
	v_mul_u32_u24_e32 v8, 0xe10, v79
	v_lshlrev_b32_e32 v9, 3, v119
	v_mov_b32_e32 v11, v15
	v_add3_u32 v12, 0, v8, v9
	s_waitcnt vmcnt(1)
	v_pk_mul_f32 v[8:9], v[4:5], v[104:105] op_sel:[0,1]
	ds_write_b64 v16, v[10:11] offset:13200
	v_pk_fma_f32 v[10:11], v[4:5], v[104:105], v[8:9] op_sel:[0,0,1] op_sel_hi:[1,1,0]
	v_pk_fma_f32 v[4:5], v[4:5], v[104:105], v[8:9] op_sel:[0,0,1] op_sel_hi:[1,0,0] neg_lo:[0,0,1] neg_hi:[0,0,1]
	s_nop 0
	v_mov_b32_e32 v4, v107
	v_mov_b32_e32 v11, v5
	v_pk_mul_f32 v[4:5], v[0:1], v[4:5] op_sel_hi:[1,0]
	s_nop 0
	v_pk_fma_f32 v[8:9], v[0:1], v[106:107], v[4:5] op_sel:[0,0,1] op_sel_hi:[1,1,0]
	v_pk_fma_f32 v[0:1], v[0:1], v[106:107], v[4:5] op_sel:[0,0,1] op_sel_hi:[1,0,0] neg_lo:[0,0,1] neg_hi:[0,0,1]
	s_nop 0
	v_mov_b32_e32 v9, v1
	v_pk_add_f32 v[0:1], v[58:59], v[10:11]
	v_pk_add_f32 v[4:5], v[10:11], v[8:9]
	;; [unrolled: 1-line block ×3, first 2 shown]
	v_pk_add_f32 v[8:9], v[10:11], v[8:9] neg_lo:[0,1] neg_hi:[0,1]
	v_pk_fma_f32 v[4:5], v[4:5], 0.5, v[58:59] op_sel_hi:[1,0,1] neg_lo:[1,0,0] neg_hi:[1,0,0]
	v_pk_mul_f32 v[8:9], v[8:9], s[6:7] op_sel_hi:[1,0]
	s_nop 0
	v_pk_add_f32 v[10:11], v[4:5], v[8:9] op_sel:[0,1] op_sel_hi:[1,0] neg_lo:[0,1] neg_hi:[0,1]
	v_pk_add_f32 v[4:5], v[4:5], v[8:9] op_sel:[0,1] op_sel_hi:[1,0]
	v_mov_b32_e32 v8, v10
	v_mov_b32_e32 v9, v5
	ds_write2_b64 v12, v[0:1], v[8:9] offset1:150
	v_mov_b32_e32 v5, v11
	s_waitcnt vmcnt(0)
	v_pk_mul_f32 v[0:1], v[6:7], v[108:109] op_sel:[0,1]
	ds_write_b64 v12, v[4:5] offset:2400
	v_pk_fma_f32 v[4:5], v[6:7], v[108:109], v[0:1] op_sel:[0,0,1] op_sel_hi:[1,1,0]
	v_pk_fma_f32 v[0:1], v[6:7], v[108:109], v[0:1] op_sel:[0,0,1] op_sel_hi:[1,0,0] neg_lo:[0,0,1] neg_hi:[0,0,1]
	v_lshl_add_u32 v8, v120, 3, 0
	v_mov_b32_e32 v0, v111
	v_mov_b32_e32 v5, v1
	v_pk_mul_f32 v[0:1], v[2:3], v[0:1] op_sel_hi:[1,0]
	s_nop 0
	v_pk_fma_f32 v[6:7], v[2:3], v[110:111], v[0:1] op_sel:[0,0,1] op_sel_hi:[1,1,0]
	v_pk_fma_f32 v[0:1], v[2:3], v[110:111], v[0:1] op_sel:[0,0,1] op_sel_hi:[1,0,0] neg_lo:[0,0,1] neg_hi:[0,0,1]
	s_nop 0
	v_mov_b32_e32 v7, v1
	v_pk_add_f32 v[0:1], v[56:57], v[4:5]
	v_pk_add_f32 v[2:3], v[4:5], v[6:7]
	v_pk_add_f32 v[4:5], v[4:5], v[6:7] neg_lo:[0,1] neg_hi:[0,1]
	v_pk_fma_f32 v[2:3], v[2:3], 0.5, v[56:57] op_sel_hi:[1,0,1] neg_lo:[1,0,0] neg_hi:[1,0,0]
	v_pk_mul_f32 v[4:5], v[4:5], s[6:7] op_sel_hi:[1,0]
	v_pk_add_f32 v[0:1], v[0:1], v[6:7]
	v_pk_add_f32 v[6:7], v[2:3], v[4:5] op_sel:[0,1] op_sel_hi:[1,0] neg_lo:[0,1] neg_hi:[0,1]
	v_pk_add_f32 v[2:3], v[2:3], v[4:5] op_sel:[0,1] op_sel_hi:[1,0]
	v_mov_b32_e32 v4, v6
	v_mov_b32_e32 v5, v3
	v_add_u32_e32 v3, 0x3800, v8
	ds_write2_b64 v3, v[0:1], v[4:5] offset0:8 offset1:158
	v_mov_b32_e32 v3, v7
	ds_write_b64 v8, v[2:3] offset:16800
	s_and_saveexec_b64 s[4:5], s[2:3]
	s_cbranch_execz .LBB0_23
; %bb.22:
	v_lshrrev_b16_e32 v0, 1, v37
	v_mul_u32_u24_e32 v0, 0xda75, v0
	v_lshrrev_b32_e32 v0, 22, v0
	v_mul_lo_u16_e32 v0, 0x96, v0
	v_sub_u16_e32 v4, v37, v0
	v_lshlrev_b32_e32 v0, 4, v4
	global_load_dwordx4 v[0:3], v0, s[8:9] offset:1120
	v_lshl_add_u32 v10, v4, 3, 0
	v_add_u32_e32 v11, 0x3800, v10
	s_waitcnt vmcnt(0)
	v_pk_mul_f32 v[4:5], v[40:41], v[0:1] op_sel:[1,0]
	v_pk_mul_f32 v[6:7], v[42:43], v[2:3] op_sel:[1,0]
	v_pk_fma_f32 v[8:9], v[42:43], v[0:1], v[4:5] op_sel:[0,0,1] op_sel_hi:[1,1,0]
	v_pk_fma_f32 v[0:1], v[42:43], v[0:1], v[4:5] op_sel:[0,0,1] op_sel_hi:[0,1,0] neg_lo:[1,0,0] neg_hi:[1,0,0]
	v_pk_fma_f32 v[4:5], v[40:41], v[2:3], v[6:7] op_sel:[0,0,1] op_sel_hi:[1,1,0]
	v_pk_fma_f32 v[2:3], v[40:41], v[2:3], v[6:7] op_sel:[0,0,1] op_sel_hi:[0,1,0] neg_lo:[1,0,0] neg_hi:[1,0,0]
	v_mov_b32_e32 v9, v1
	v_mov_b32_e32 v5, v3
	v_pk_add_f32 v[0:1], v[52:53], v[8:9]
	v_pk_add_f32 v[2:3], v[8:9], v[4:5]
	v_pk_add_f32 v[6:7], v[8:9], v[4:5] neg_lo:[0,1] neg_hi:[0,1]
	v_pk_add_f32 v[0:1], v[0:1], v[4:5]
	v_pk_fma_f32 v[2:3], -0.5, v[2:3], v[52:53] op_sel_hi:[0,1,1]
	v_pk_mul_f32 v[4:5], v[6:7], s[6:7] op_sel_hi:[1,0]
	s_nop 0
	v_pk_add_f32 v[6:7], v[2:3], v[4:5] op_sel:[0,1] op_sel_hi:[1,0] neg_lo:[0,1] neg_hi:[0,1]
	v_pk_add_f32 v[2:3], v[2:3], v[4:5] op_sel:[0,1] op_sel_hi:[1,0]
	v_mov_b32_e32 v4, v6
	v_mov_b32_e32 v5, v3
	;; [unrolled: 1-line block ×3, first 2 shown]
	ds_write2_b64 v11, v[0:1], v[4:5] offset0:8 offset1:158
	ds_write_b64 v10, v[2:3] offset:16800
.LBB0_23:
	s_or_b64 exec, exec, s[4:5]
	v_lshlrev_b32_e32 v54, 2, v44
	v_lshl_add_u64 v[8:9], v[54:55], 3, s[8:9]
	v_lshlrev_b32_e32 v54, 2, v48
	s_waitcnt lgkmcnt(0)
	s_barrier
	global_load_dwordx4 v[4:7], v[8:9], off offset:3520
	global_load_dwordx4 v[0:3], v[8:9], off offset:3536
	v_lshl_add_u64 v[26:27], v[54:55], 3, s[8:9]
	v_lshlrev_b32_e32 v54, 2, v50
	v_lshl_add_u64 v[96:97], v[54:55], 3, s[8:9]
	v_lshlrev_b32_e32 v54, 2, v35
	v_lshl_add_u64 v[8:9], v[54:55], 3, s[8:9]
	global_load_dwordx4 v[20:23], v[8:9], off offset:3520
	global_load_dwordx4 v[12:15], v[8:9], off offset:3536
	v_lshlrev_b32_e32 v54, 2, v38
	v_lshl_add_u64 v[24:25], v[54:55], 3, s[8:9]
	global_load_dwordx4 v[16:19], v[24:25], off offset:3520
	global_load_dwordx4 v[8:11], v[24:25], off offset:3536
	v_add_u32_e32 v28, 0x1800, v72
	v_add_u32_e32 v35, 0x2400, v72
	;; [unrolled: 1-line block ×3, first 2 shown]
	ds_read_b64 v[98:99], v72 offset:17280
	ds_read_b64 v[100:101], v72
	ds_read_b64 v[24:25], v78 offset:2160
	v_add_u32_e32 v39, 0x1400, v72
	v_add_u32_e32 v45, 0x2000, v72
	;; [unrolled: 1-line block ×4, first 2 shown]
	ds_read_b64 v[102:103], v75
	ds_read_b64 v[104:105], v33
	ds_read2_b64 v[28:31], v28 offset0:132 offset1:222
	ds_read2_b64 v[40:43], v35 offset0:108 offset1:198
	;; [unrolled: 1-line block ×7, first 2 shown]
	global_load_dwordx4 v[80:83], v[26:27], off offset:3536
	global_load_dwordx4 v[84:87], v[26:27], off offset:3520
	;; [unrolled: 1-line block ×4, first 2 shown]
	ds_read_b64 v[26:27], v76
	s_mov_b32 s4, 0x3f737871
	s_mov_b32 s6, 0x3f167918
	;; [unrolled: 1-line block ×3, first 2 shown]
	s_waitcnt vmcnt(9) lgkmcnt(9)
	v_pk_mul_f32 v[96:97], v[4:5], v[102:103] op_sel:[0,1]
	s_waitcnt lgkmcnt(7)
	v_pk_mul_f32 v[106:107], v[6:7], v[28:29] op_sel:[0,1]
	s_waitcnt vmcnt(8) lgkmcnt(6)
	v_pk_mul_f32 v[108:109], v[0:1], v[42:43] op_sel:[0,1]
	v_mov_b32_e32 v110, v3
	v_pk_fma_f32 v[112:113], v[4:5], v[102:103], v[96:97] op_sel:[0,0,1] op_sel_hi:[1,1,0]
	v_pk_fma_f32 v[4:5], v[4:5], v[102:103], v[96:97] op_sel:[0,0,1] op_sel_hi:[1,0,0] neg_lo:[1,0,0] neg_hi:[1,0,0]
	v_pk_fma_f32 v[96:97], v[6:7], v[28:29], v[106:107] op_sel:[0,0,1] op_sel_hi:[1,1,0]
	v_pk_fma_f32 v[6:7], v[6:7], v[28:29], v[106:107] op_sel:[0,0,1] op_sel_hi:[1,0,0] neg_lo:[1,0,0] neg_hi:[1,0,0]
	;; [unrolled: 2-line block ×3, first 2 shown]
	s_waitcnt lgkmcnt(5)
	v_pk_mul_f32 v[42:43], v[52:53], v[110:111] op_sel_hi:[1,0]
	v_mov_b32_e32 v113, v5
	v_mov_b32_e32 v97, v7
	;; [unrolled: 1-line block ×3, first 2 shown]
	v_pk_fma_f32 v[6:7], v[52:53], v[2:3], v[42:43] op_sel:[0,0,1] op_sel_hi:[1,1,0]
	v_pk_fma_f32 v[0:1], v[52:53], v[2:3], v[42:43] op_sel:[0,0,1] op_sel_hi:[1,0,0] neg_lo:[0,0,1] neg_hi:[0,0,1]
	s_waitcnt vmcnt(7) lgkmcnt(4)
	v_pk_mul_f32 v[2:3], v[56:57], v[20:21] op_sel:[0,1]
	v_mov_b32_e32 v4, v23
	v_mov_b32_e32 v7, v1
	v_pk_add_f32 v[0:1], v[100:101], v[112:113]
	s_waitcnt vmcnt(6) lgkmcnt(2)
	v_pk_mul_f32 v[42:43], v[64:65], v[12:13] op_sel:[0,1]
	v_mov_b32_e32 v52, v15
	v_pk_fma_f32 v[102:103], v[56:57], v[20:21], v[2:3] op_sel:[0,0,1] op_sel_hi:[1,1,0]
	v_pk_fma_f32 v[2:3], v[56:57], v[20:21], v[2:3] op_sel:[0,0,1] op_sel_hi:[1,0,0] neg_lo:[0,0,1] neg_hi:[0,0,1]
	v_pk_mul_f32 v[4:5], v[62:63], v[4:5] op_sel_hi:[1,0]
	v_pk_add_f32 v[0:1], v[0:1], v[96:97]
	v_pk_fma_f32 v[20:21], v[64:65], v[12:13], v[42:43] op_sel:[0,0,1] op_sel_hi:[1,1,0]
	v_pk_fma_f32 v[12:13], v[64:65], v[12:13], v[42:43] op_sel:[0,0,1] op_sel_hi:[1,0,0] neg_lo:[0,0,1] neg_hi:[0,0,1]
	s_waitcnt lgkmcnt(1)
	v_pk_mul_f32 v[42:43], v[70:71], v[52:53] op_sel_hi:[1,0]
	s_waitcnt vmcnt(5)
	v_pk_mul_f32 v[52:53], v[58:59], v[16:17] op_sel:[0,1]
	v_mov_b32_e32 v2, v19
	v_mov_b32_e32 v103, v3
	v_pk_fma_f32 v[64:65], v[62:63], v[22:23], v[4:5] op_sel:[0,0,1] op_sel_hi:[1,1,0]
	v_pk_fma_f32 v[4:5], v[62:63], v[22:23], v[4:5] op_sel:[0,0,1] op_sel_hi:[1,0,0] neg_lo:[0,0,1] neg_hi:[0,0,1]
	v_pk_add_f32 v[56:57], v[0:1], v[28:29]
	v_mov_b32_e32 v21, v13
	v_pk_fma_f32 v[22:23], v[70:71], v[14:15], v[42:43] op_sel:[0,0,1] op_sel_hi:[1,1,0]
	v_pk_fma_f32 v[12:13], v[70:71], v[14:15], v[42:43] op_sel:[0,0,1] op_sel_hi:[1,0,0] neg_lo:[0,0,1] neg_hi:[0,0,1]
	v_pk_fma_f32 v[0:1], v[58:59], v[16:17], v[52:53] op_sel:[0,0,1] op_sel_hi:[1,1,0]
	v_pk_fma_f32 v[14:15], v[58:59], v[16:17], v[52:53] op_sel:[0,0,1] op_sel_hi:[1,0,0] neg_lo:[0,0,1] neg_hi:[0,0,1]
	v_pk_mul_f32 v[16:17], v[40:41], v[2:3] op_sel_hi:[1,0]
	v_mov_b32_e32 v65, v5
	v_pk_add_f32 v[2:3], v[24:25], v[102:103]
	v_mov_b32_e32 v23, v13
	v_pk_add_f32 v[2:3], v[2:3], v[64:65]
	;; [unrolled: 2-line block ×3, first 2 shown]
	v_pk_fma_f32 v[4:5], v[40:41], v[18:19], v[16:17] op_sel:[0,0,1] op_sel_hi:[1,0,0] neg_lo:[0,0,1] neg_hi:[0,0,1]
	v_pk_add_f32 v[14:15], v[2:3], v[22:23]
	v_pk_fma_f32 v[2:3], v[40:41], v[18:19], v[16:17] op_sel:[0,0,1] op_sel_hi:[1,1,0]
	ds_read_b64 v[18:19], v77
	s_waitcnt vmcnt(4)
	v_pk_mul_f32 v[12:13], v[66:67], v[8:9] op_sel:[0,1]
	v_mov_b32_e32 v3, v5
	v_pk_fma_f32 v[4:5], v[66:67], v[8:9], v[12:13] op_sel:[0,0,1] op_sel_hi:[1,1,0]
	v_pk_fma_f32 v[8:9], v[66:67], v[8:9], v[12:13] op_sel:[0,0,1] op_sel_hi:[1,0,0] neg_lo:[0,0,1] neg_hi:[0,0,1]
	v_pk_add_f32 v[52:53], v[96:97], v[28:29] neg_lo:[0,1] neg_hi:[0,1]
	v_mov_b32_e32 v8, v11
	v_mov_b32_e32 v5, v9
	v_pk_mul_f32 v[8:9], v[98:99], v[8:9] op_sel_hi:[1,0]
	v_pk_add_f32 v[58:59], v[112:113], v[96:97] neg_lo:[0,1] neg_hi:[0,1]
	v_pk_fma_f32 v[16:17], v[98:99], v[10:11], v[8:9] op_sel:[0,0,1] op_sel_hi:[1,1,0]
	v_pk_fma_f32 v[8:9], v[98:99], v[10:11], v[8:9] op_sel:[0,0,1] op_sel_hi:[1,0,0] neg_lo:[0,0,1] neg_hi:[0,0,1]
	v_pk_add_f32 v[10:11], v[112:113], v[6:7] neg_lo:[0,1] neg_hi:[0,1]
	v_mov_b32_e32 v17, v9
	s_waitcnt lgkmcnt(1)
	v_pk_add_f32 v[8:9], v[26:27], v[0:1]
	v_pk_mul_f32 v[12:13], v[10:11], s[4:5] op_sel_hi:[1,0]
	v_pk_add_f32 v[8:9], v[8:9], v[2:3]
	v_pk_add_f32 v[62:63], v[6:7], v[28:29] neg_lo:[0,1] neg_hi:[0,1]
	v_pk_add_f32 v[8:9], v[8:9], v[4:5]
	v_pk_add_f32 v[42:43], v[56:57], v[6:7]
	;; [unrolled: 1-line block ×4, first 2 shown]
	v_pk_mul_f32 v[56:57], v[52:53], s[6:7] op_sel_hi:[1,0]
	v_pk_fma_f32 v[8:9], v[8:9], 0.5, v[100:101] op_sel_hi:[1,0,1] neg_lo:[1,0,0] neg_hi:[1,0,0]
	v_pk_add_f32 v[58:59], v[58:59], v[62:63]
	v_pk_add_f32 v[62:63], v[8:9], v[12:13] op_sel:[0,1] op_sel_hi:[1,0] neg_lo:[0,1] neg_hi:[0,1]
	v_pk_add_f32 v[8:9], v[8:9], v[12:13] op_sel:[0,1] op_sel_hi:[1,0]
	v_pk_mul_f32 v[10:11], v[10:11], s[6:7] op_sel_hi:[1,0]
	v_pk_add_f32 v[12:13], v[8:9], v[56:57] op_sel:[0,1] op_sel_hi:[1,0]
	v_pk_add_f32 v[56:57], v[62:63], v[56:57] op_sel:[0,1] op_sel_hi:[1,0] neg_lo:[0,1] neg_hi:[0,1]
	v_mov_b32_e32 v9, v13
	v_mov_b32_e32 v8, v56
	v_pk_fma_f32 v[62:63], v[58:59], s[2:3], v[8:9] op_sel_hi:[1,0,1]
	v_pk_add_f32 v[8:9], v[112:113], v[6:7]
	v_pk_add_f32 v[6:7], v[28:29], v[6:7] neg_lo:[0,1] neg_hi:[0,1]
	v_pk_fma_f32 v[8:9], v[8:9], 0.5, v[100:101] op_sel_hi:[1,0,1] neg_lo:[1,0,0] neg_hi:[1,0,0]
	v_pk_mul_f32 v[28:29], v[52:53], s[4:5] op_sel_hi:[1,0]
	v_pk_add_f32 v[66:67], v[96:97], v[112:113] neg_lo:[0,1] neg_hi:[0,1]
	v_pk_add_f32 v[52:53], v[8:9], v[28:29] op_sel:[0,1] op_sel_hi:[1,0]
	v_pk_add_f32 v[8:9], v[8:9], v[28:29] op_sel:[0,1] op_sel_hi:[1,0] neg_lo:[0,1] neg_hi:[0,1]
	v_pk_add_f32 v[6:7], v[66:67], v[6:7]
	v_pk_add_f32 v[8:9], v[8:9], v[10:11] op_sel:[0,1] op_sel_hi:[1,0]
	v_pk_add_f32 v[10:11], v[52:53], v[10:11] op_sel:[0,1] op_sel_hi:[1,0] neg_lo:[0,1] neg_hi:[0,1]
	v_mov_b32_e32 v29, v9
	v_mov_b32_e32 v28, v10
	;; [unrolled: 1-line block ×3, first 2 shown]
	v_pk_fma_f32 v[28:29], v[6:7], s[2:3], v[28:29] op_sel_hi:[1,0,1]
	v_pk_fma_f32 v[52:53], v[6:7], s[2:3], v[8:9] op_sel_hi:[1,0,1]
	v_add_u32_e32 v6, 0x1000, v72
	ds_read2_b64 v[6:9], v6 offset0:28 offset1:118
	v_mov_b32_e32 v13, v57
	v_add_u32_e32 v10, 0x2800, v72
	v_pk_fma_f32 v[56:57], v[58:59], s[2:3], v[12:13] op_sel_hi:[1,0,1]
	ds_read2_b64 v[10:13], v10 offset0:160 offset1:250
	s_waitcnt vmcnt(0) lgkmcnt(1)
	v_pk_mul_f32 v[58:59], v[8:9], v[92:93] op_sel:[0,1]
	s_waitcnt lgkmcnt(0)
	v_pk_fma_f32 v[66:67], v[8:9], v[92:93], v[58:59] op_sel:[0,0,1] op_sel_hi:[1,1,0]
	v_pk_fma_f32 v[8:9], v[8:9], v[92:93], v[58:59] op_sel:[0,0,1] op_sel_hi:[1,0,0] neg_lo:[0,0,1] neg_hi:[0,0,1]
	s_barrier
	v_mov_b32_e32 v8, v95
	v_mov_b32_e32 v67, v9
	v_pk_mul_f32 v[8:9], v[60:61], v[8:9] op_sel_hi:[1,0]
	s_nop 0
	v_pk_fma_f32 v[58:59], v[60:61], v[94:95], v[8:9] op_sel:[0,0,1] op_sel_hi:[1,1,0]
	v_pk_fma_f32 v[8:9], v[60:61], v[94:95], v[8:9] op_sel:[0,0,1] op_sel_hi:[1,0,0] neg_lo:[0,0,1] neg_hi:[0,0,1]
	s_nop 0
	v_mov_b32_e32 v59, v9
	v_pk_mul_f32 v[8:9], v[12:13], v[88:89] op_sel:[0,1]
	s_nop 0
	v_pk_fma_f32 v[60:61], v[12:13], v[88:89], v[8:9] op_sel:[0,0,1] op_sel_hi:[1,1,0]
	v_pk_fma_f32 v[8:9], v[12:13], v[88:89], v[8:9] op_sel:[0,0,1] op_sel_hi:[1,0,0] neg_lo:[0,0,1] neg_hi:[0,0,1]
	s_nop 0
	v_mov_b32_e32 v8, v91
	v_mov_b32_e32 v61, v9
	v_pk_mul_f32 v[8:9], v[68:69], v[8:9] op_sel_hi:[1,0]
	s_nop 0
	v_pk_fma_f32 v[12:13], v[68:69], v[90:91], v[8:9] op_sel:[0,0,1] op_sel_hi:[1,1,0]
	v_pk_fma_f32 v[8:9], v[68:69], v[90:91], v[8:9] op_sel:[0,0,1] op_sel_hi:[1,0,0] neg_lo:[0,0,1] neg_hi:[0,0,1]
	v_pk_mul_f32 v[68:69], v[6:7], v[84:85] op_sel:[0,1]
	v_mov_b32_e32 v13, v9
	v_pk_fma_f32 v[70:71], v[6:7], v[84:85], v[68:69] op_sel:[0,0,1] op_sel_hi:[1,1,0]
	v_pk_fma_f32 v[6:7], v[6:7], v[84:85], v[68:69] op_sel:[0,0,1] op_sel_hi:[1,0,0] neg_lo:[0,0,1] neg_hi:[0,0,1]
	v_pk_add_f32 v[8:9], v[18:19], v[66:67]
	v_mov_b32_e32 v6, v87
	v_mov_b32_e32 v71, v7
	v_pk_mul_f32 v[6:7], v[30:31], v[6:7] op_sel_hi:[1,0]
	v_pk_add_f32 v[8:9], v[8:9], v[58:59]
	v_pk_fma_f32 v[68:69], v[30:31], v[86:87], v[6:7] op_sel:[0,0,1] op_sel_hi:[1,1,0]
	v_pk_fma_f32 v[6:7], v[30:31], v[86:87], v[6:7] op_sel:[0,0,1] op_sel_hi:[1,0,0] neg_lo:[0,0,1] neg_hi:[0,0,1]
	v_pk_add_f32 v[8:9], v[8:9], v[60:61]
	v_mov_b32_e32 v69, v7
	v_pk_mul_f32 v[6:7], v[10:11], v[80:81] op_sel:[0,1]
	v_pk_add_f32 v[8:9], v[8:9], v[12:13]
	v_pk_fma_f32 v[30:31], v[10:11], v[80:81], v[6:7] op_sel:[0,0,1] op_sel_hi:[1,1,0]
	v_pk_fma_f32 v[6:7], v[10:11], v[80:81], v[6:7] op_sel:[0,0,1] op_sel_hi:[1,0,0] neg_lo:[0,0,1] neg_hi:[0,0,1]
	s_nop 0
	v_mov_b32_e32 v6, v83
	v_mov_b32_e32 v31, v7
	v_pk_mul_f32 v[6:7], v[54:55], v[6:7] op_sel_hi:[1,0]
	s_nop 0
	v_pk_fma_f32 v[10:11], v[54:55], v[82:83], v[6:7] op_sel:[0,0,1] op_sel_hi:[1,1,0]
	v_pk_fma_f32 v[6:7], v[54:55], v[82:83], v[6:7] op_sel:[0,0,1] op_sel_hi:[1,0,0] neg_lo:[0,0,1] neg_hi:[0,0,1]
	s_nop 0
	v_mov_b32_e32 v11, v7
	v_pk_add_f32 v[6:7], v[104:105], v[70:71]
	s_nop 0
	v_pk_add_f32 v[6:7], v[6:7], v[68:69]
	s_nop 0
	;; [unrolled: 2-line block ×3, first 2 shown]
	v_pk_add_f32 v[6:7], v[6:7], v[10:11]
	ds_write_b64 v72, v[42:43]
	ds_write_b64 v72, v[62:63] offset:3600
	ds_write_b64 v72, v[28:29] offset:7200
	;; [unrolled: 1-line block ×4, first 2 shown]
	ds_write_b64 v33, v[6:7]
	v_pk_add_f32 v[6:7], v[68:69], v[30:31]
	v_pk_add_f32 v[28:29], v[70:71], v[10:11] neg_lo:[0,1] neg_hi:[0,1]
	v_pk_fma_f32 v[6:7], v[6:7], 0.5, v[104:105] op_sel_hi:[1,0,1] neg_lo:[1,0,0] neg_hi:[1,0,0]
	v_pk_mul_f32 v[42:43], v[28:29], s[4:5] op_sel_hi:[1,0]
	v_pk_add_f32 v[52:53], v[68:69], v[30:31] neg_lo:[0,1] neg_hi:[0,1]
	v_pk_add_f32 v[56:57], v[70:71], v[68:69] neg_lo:[0,1] neg_hi:[0,1]
	;; [unrolled: 1-line block ×3, first 2 shown]
	v_pk_mul_f32 v[54:55], v[52:53], s[6:7] op_sel_hi:[1,0]
	v_pk_add_f32 v[56:57], v[56:57], v[62:63]
	v_pk_add_f32 v[62:63], v[6:7], v[42:43] op_sel:[0,1] op_sel_hi:[1,0] neg_lo:[0,1] neg_hi:[0,1]
	v_pk_add_f32 v[6:7], v[6:7], v[42:43] op_sel:[0,1] op_sel_hi:[1,0]
	v_pk_add_f32 v[42:43], v[62:63], v[54:55] op_sel:[0,1] op_sel_hi:[1,0] neg_lo:[0,1] neg_hi:[0,1]
	v_pk_add_f32 v[6:7], v[6:7], v[54:55] op_sel:[0,1] op_sel_hi:[1,0]
	v_mov_b32_e32 v54, v42
	v_mov_b32_e32 v55, v7
	v_pk_fma_f32 v[54:55], v[56:57], s[2:3], v[54:55] op_sel_hi:[1,0,1]
	ds_write_b64 v33, v[54:55] offset:3600
	v_pk_add_f32 v[54:55], v[70:71], v[10:11]
	v_pk_add_f32 v[10:11], v[30:31], v[10:11] neg_lo:[0,1] neg_hi:[0,1]
	v_pk_fma_f32 v[54:55], v[54:55], 0.5, v[104:105] op_sel_hi:[1,0,1] neg_lo:[1,0,0] neg_hi:[1,0,0]
	v_pk_mul_f32 v[30:31], v[52:53], s[4:5] op_sel_hi:[1,0]
	v_pk_mul_f32 v[28:29], v[28:29], s[6:7] op_sel_hi:[1,0]
	v_pk_add_f32 v[52:53], v[54:55], v[30:31] op_sel:[0,1] op_sel_hi:[1,0]
	v_pk_add_f32 v[30:31], v[54:55], v[30:31] op_sel:[0,1] op_sel_hi:[1,0] neg_lo:[0,1] neg_hi:[0,1]
	v_pk_add_f32 v[62:63], v[68:69], v[70:71] neg_lo:[0,1] neg_hi:[0,1]
	v_pk_add_f32 v[30:31], v[30:31], v[28:29] op_sel:[0,1] op_sel_hi:[1,0]
	v_pk_add_f32 v[28:29], v[52:53], v[28:29] op_sel:[0,1] op_sel_hi:[1,0] neg_lo:[0,1] neg_hi:[0,1]
	v_pk_add_f32 v[10:11], v[62:63], v[10:11]
	v_mov_b32_e32 v52, v28
	v_mov_b32_e32 v53, v31
	;; [unrolled: 1-line block ×4, first 2 shown]
	v_pk_fma_f32 v[52:53], v[10:11], s[2:3], v[52:53] op_sel_hi:[1,0,1]
	v_pk_fma_f32 v[10:11], v[10:11], s[2:3], v[30:31] op_sel_hi:[1,0,1]
	;; [unrolled: 1-line block ×3, first 2 shown]
	ds_write_b64 v33, v[52:53] offset:7200
	ds_write_b64 v33, v[10:11] offset:10800
	;; [unrolled: 1-line block ×3, first 2 shown]
	ds_write_b64 v77, v[8:9]
	v_pk_add_f32 v[6:7], v[58:59], v[60:61]
	v_pk_add_f32 v[8:9], v[66:67], v[12:13] neg_lo:[0,1] neg_hi:[0,1]
	v_pk_fma_f32 v[6:7], v[6:7], 0.5, v[18:19] op_sel_hi:[1,0,1] neg_lo:[1,0,0] neg_hi:[1,0,0]
	v_pk_mul_f32 v[10:11], v[8:9], s[4:5] op_sel_hi:[1,0]
	v_pk_add_f32 v[28:29], v[58:59], v[60:61] neg_lo:[0,1] neg_hi:[0,1]
	v_pk_add_f32 v[42:43], v[66:67], v[58:59] neg_lo:[0,1] neg_hi:[0,1]
	;; [unrolled: 1-line block ×3, first 2 shown]
	v_pk_mul_f32 v[30:31], v[28:29], s[6:7] op_sel_hi:[1,0]
	v_pk_add_f32 v[42:43], v[42:43], v[52:53]
	v_pk_add_f32 v[52:53], v[6:7], v[10:11] op_sel:[0,1] op_sel_hi:[1,0] neg_lo:[0,1] neg_hi:[0,1]
	v_pk_add_f32 v[6:7], v[6:7], v[10:11] op_sel:[0,1] op_sel_hi:[1,0]
	v_pk_add_f32 v[10:11], v[52:53], v[30:31] op_sel:[0,1] op_sel_hi:[1,0] neg_lo:[0,1] neg_hi:[0,1]
	v_pk_add_f32 v[6:7], v[6:7], v[30:31] op_sel:[0,1] op_sel_hi:[1,0]
	v_mov_b32_e32 v30, v10
	v_mov_b32_e32 v31, v7
	v_pk_fma_f32 v[30:31], v[42:43], s[2:3], v[30:31] op_sel_hi:[1,0,1]
	ds_write_b64 v77, v[30:31] offset:3600
	v_pk_add_f32 v[30:31], v[66:67], v[12:13]
	v_pk_add_f32 v[12:13], v[60:61], v[12:13] neg_lo:[0,1] neg_hi:[0,1]
	v_pk_fma_f32 v[18:19], v[30:31], 0.5, v[18:19] op_sel_hi:[1,0,1] neg_lo:[1,0,0] neg_hi:[1,0,0]
	v_pk_add_f32 v[30:31], v[58:59], v[66:67] neg_lo:[0,1] neg_hi:[0,1]
	v_pk_mul_f32 v[28:29], v[28:29], s[4:5] op_sel_hi:[1,0]
	v_pk_add_f32 v[12:13], v[30:31], v[12:13]
	v_pk_mul_f32 v[8:9], v[8:9], s[6:7] op_sel_hi:[1,0]
	v_pk_add_f32 v[30:31], v[18:19], v[28:29] op_sel:[0,1] op_sel_hi:[1,0]
	v_pk_add_f32 v[18:19], v[18:19], v[28:29] op_sel:[0,1] op_sel_hi:[1,0] neg_lo:[0,1] neg_hi:[0,1]
	v_mov_b32_e32 v7, v11
	v_pk_add_f32 v[18:19], v[18:19], v[8:9] op_sel:[0,1] op_sel_hi:[1,0]
	v_pk_add_f32 v[8:9], v[30:31], v[8:9] op_sel:[0,1] op_sel_hi:[1,0] neg_lo:[0,1] neg_hi:[0,1]
	v_mov_b32_e32 v29, v19
	v_mov_b32_e32 v28, v8
	;; [unrolled: 1-line block ×3, first 2 shown]
	v_pk_fma_f32 v[28:29], v[12:13], s[2:3], v[28:29] op_sel_hi:[1,0,1]
	v_pk_fma_f32 v[8:9], v[12:13], s[2:3], v[18:19] op_sel_hi:[1,0,1]
	;; [unrolled: 1-line block ×3, first 2 shown]
	ds_write_b64 v77, v[28:29] offset:7200
	ds_write_b64 v77, v[8:9] offset:10800
	;; [unrolled: 1-line block ×4, first 2 shown]
	v_pk_add_f32 v[6:7], v[64:65], v[20:21]
	v_pk_add_f32 v[8:9], v[102:103], v[22:23] neg_lo:[0,1] neg_hi:[0,1]
	v_pk_fma_f32 v[6:7], v[6:7], 0.5, v[24:25] op_sel_hi:[1,0,1] neg_lo:[1,0,0] neg_hi:[1,0,0]
	v_pk_mul_f32 v[10:11], v[8:9], s[4:5] op_sel_hi:[1,0]
	v_pk_add_f32 v[12:13], v[64:65], v[20:21] neg_lo:[0,1] neg_hi:[0,1]
	v_pk_add_f32 v[18:19], v[102:103], v[64:65] neg_lo:[0,1] neg_hi:[0,1]
	;; [unrolled: 1-line block ×3, first 2 shown]
	v_pk_mul_f32 v[14:15], v[12:13], s[6:7] op_sel_hi:[1,0]
	v_pk_add_f32 v[18:19], v[18:19], v[28:29]
	v_pk_add_f32 v[28:29], v[6:7], v[10:11] op_sel:[0,1] op_sel_hi:[1,0] neg_lo:[0,1] neg_hi:[0,1]
	v_pk_add_f32 v[6:7], v[6:7], v[10:11] op_sel:[0,1] op_sel_hi:[1,0]
	v_pk_add_f32 v[10:11], v[28:29], v[14:15] op_sel:[0,1] op_sel_hi:[1,0] neg_lo:[0,1] neg_hi:[0,1]
	v_pk_add_f32 v[6:7], v[6:7], v[14:15] op_sel:[0,1] op_sel_hi:[1,0]
	v_mov_b32_e32 v14, v10
	v_mov_b32_e32 v15, v7
	v_pk_fma_f32 v[14:15], v[18:19], s[2:3], v[14:15] op_sel_hi:[1,0,1]
	ds_write_b64 v78, v[14:15] offset:5760
	v_pk_add_f32 v[14:15], v[102:103], v[22:23]
	v_pk_mul_f32 v[12:13], v[12:13], s[4:5] op_sel_hi:[1,0]
	v_pk_fma_f32 v[14:15], v[14:15], 0.5, v[24:25] op_sel_hi:[1,0,1] neg_lo:[1,0,0] neg_hi:[1,0,0]
	v_pk_add_f32 v[20:21], v[20:21], v[22:23] neg_lo:[0,1] neg_hi:[0,1]
	v_pk_mul_f32 v[8:9], v[8:9], s[6:7] op_sel_hi:[1,0]
	v_pk_add_f32 v[22:23], v[14:15], v[12:13] op_sel:[0,1] op_sel_hi:[1,0]
	v_pk_add_f32 v[12:13], v[14:15], v[12:13] op_sel:[0,1] op_sel_hi:[1,0] neg_lo:[0,1] neg_hi:[0,1]
	v_pk_add_f32 v[24:25], v[64:65], v[102:103] neg_lo:[0,1] neg_hi:[0,1]
	v_pk_add_f32 v[12:13], v[12:13], v[8:9] op_sel:[0,1] op_sel_hi:[1,0]
	v_pk_add_f32 v[8:9], v[22:23], v[8:9] op_sel:[0,1] op_sel_hi:[1,0] neg_lo:[0,1] neg_hi:[0,1]
	v_pk_add_f32 v[20:21], v[24:25], v[20:21]
	v_mov_b32_e32 v14, v8
	v_mov_b32_e32 v15, v13
	;; [unrolled: 1-line block ×4, first 2 shown]
	v_pk_fma_f32 v[14:15], v[20:21], s[2:3], v[14:15] op_sel_hi:[1,0,1]
	v_pk_fma_f32 v[8:9], v[20:21], s[2:3], v[12:13] op_sel_hi:[1,0,1]
	;; [unrolled: 1-line block ×3, first 2 shown]
	ds_write_b64 v78, v[14:15] offset:9360
	ds_write_b64 v78, v[8:9] offset:12960
	;; [unrolled: 1-line block ×3, first 2 shown]
	ds_write_b64 v76, v[40:41]
	v_pk_add_f32 v[6:7], v[2:3], v[4:5]
	v_pk_add_f32 v[8:9], v[0:1], v[16:17] neg_lo:[0,1] neg_hi:[0,1]
	v_pk_fma_f32 v[6:7], v[6:7], 0.5, v[26:27] op_sel_hi:[1,0,1] neg_lo:[1,0,0] neg_hi:[1,0,0]
	v_pk_mul_f32 v[10:11], v[8:9], s[4:5] op_sel_hi:[1,0]
	v_pk_add_f32 v[12:13], v[2:3], v[4:5] neg_lo:[0,1] neg_hi:[0,1]
	v_pk_add_f32 v[18:19], v[0:1], v[2:3] neg_lo:[0,1] neg_hi:[0,1]
	;; [unrolled: 1-line block ×3, first 2 shown]
	v_pk_mul_f32 v[14:15], v[12:13], s[6:7] op_sel_hi:[1,0]
	v_pk_add_f32 v[18:19], v[18:19], v[20:21]
	v_pk_add_f32 v[20:21], v[6:7], v[10:11] op_sel:[0,1] op_sel_hi:[1,0] neg_lo:[0,1] neg_hi:[0,1]
	v_pk_add_f32 v[6:7], v[6:7], v[10:11] op_sel:[0,1] op_sel_hi:[1,0]
	v_pk_add_f32 v[10:11], v[20:21], v[14:15] op_sel:[0,1] op_sel_hi:[1,0] neg_lo:[0,1] neg_hi:[0,1]
	v_pk_add_f32 v[6:7], v[6:7], v[14:15] op_sel:[0,1] op_sel_hi:[1,0]
	v_mov_b32_e32 v14, v10
	v_mov_b32_e32 v15, v7
	v_pk_fma_f32 v[14:15], v[18:19], s[2:3], v[14:15] op_sel_hi:[1,0,1]
	ds_write_b64 v76, v[14:15] offset:3600
	v_pk_add_f32 v[14:15], v[0:1], v[16:17]
	v_pk_add_f32 v[0:1], v[2:3], v[0:1] neg_lo:[0,1] neg_hi:[0,1]
	v_pk_add_f32 v[2:3], v[4:5], v[16:17] neg_lo:[0,1] neg_hi:[0,1]
	v_pk_fma_f32 v[14:15], v[14:15], 0.5, v[26:27] op_sel_hi:[1,0,1] neg_lo:[1,0,0] neg_hi:[1,0,0]
	v_pk_add_f32 v[0:1], v[0:1], v[2:3]
	v_pk_mul_f32 v[2:3], v[12:13], s[4:5] op_sel_hi:[1,0]
	v_pk_mul_f32 v[4:5], v[8:9], s[6:7] op_sel_hi:[1,0]
	v_pk_add_f32 v[8:9], v[14:15], v[2:3] op_sel:[0,1] op_sel_hi:[1,0]
	v_pk_add_f32 v[2:3], v[14:15], v[2:3] op_sel:[0,1] op_sel_hi:[1,0] neg_lo:[0,1] neg_hi:[0,1]
	v_mov_b32_e32 v7, v11
	v_pk_add_f32 v[2:3], v[2:3], v[4:5] op_sel:[0,1] op_sel_hi:[1,0]
	v_pk_add_f32 v[4:5], v[8:9], v[4:5] op_sel:[0,1] op_sel_hi:[1,0] neg_lo:[0,1] neg_hi:[0,1]
	v_mov_b32_e32 v9, v3
	v_mov_b32_e32 v8, v4
	;; [unrolled: 1-line block ×3, first 2 shown]
	v_pk_fma_f32 v[8:9], v[0:1], s[2:3], v[8:9] op_sel_hi:[1,0,1]
	v_pk_fma_f32 v[0:1], v[0:1], s[2:3], v[2:3] op_sel_hi:[1,0,1]
	ds_write_b64 v76, v[0:1] offset:10800
	v_pk_fma_f32 v[0:1], v[18:19], s[2:3], v[6:7] op_sel_hi:[1,0,1]
	ds_write_b64 v76, v[8:9] offset:7200
	ds_write_b64 v76, v[0:1] offset:14400
	s_waitcnt lgkmcnt(0)
	s_barrier
	ds_read_b64 v[4:5], v72
	s_add_u32 s4, s8, 0x4600
	v_lshlrev_b32_e32 v0, 3, v44
	s_addc_u32 s5, s9, 0
	v_sub_u32_e32 v8, 0, v0
	v_cmp_ne_u32_e64 s[2:3], 0, v44
                                        ; implicit-def: $vgpr6_vgpr7
                                        ; implicit-def: $vgpr3
                                        ; implicit-def: $vgpr0_vgpr1
	s_and_saveexec_b64 s[6:7], s[2:3]
	s_xor_b64 s[2:3], exec, s[6:7]
	s_cbranch_execz .LBB0_25
; %bb.24:
	v_mov_b32_e32 v45, 0
	v_lshl_add_u64 v[0:1], v[44:45], 3, s[4:5]
	global_load_dwordx2 v[0:1], v[0:1], off
	ds_read_b64 v[2:3], v8 offset:18000
	v_mov_b32_e32 v7, 0.5
	v_mov_b32_e32 v10, v7
	s_waitcnt lgkmcnt(0)
	v_pk_add_f32 v[12:13], v[2:3], v[4:5]
	v_pk_add_f32 v[2:3], v[4:5], v[2:3] neg_lo:[0,1] neg_hi:[0,1]
	v_mov_b32_e32 v4, v13
	v_mov_b32_e32 v5, v2
	v_pk_mul_f32 v[4:5], v[4:5], 0.5 op_sel_hi:[1,0]
	s_waitcnt vmcnt(0)
	v_mov_b32_e32 v6, v1
	v_mov_b32_e32 v2, v5
	;; [unrolled: 1-line block ×4, first 2 shown]
	v_pk_mul_f32 v[2:3], v[6:7], v[2:3]
	v_pk_mul_f32 v[14:15], v[0:1], v[4:5] op_sel_hi:[0,1]
	v_pk_fma_f32 v[6:7], v[12:13], v[10:11], v[2:3]
	v_pk_fma_f32 v[10:11], v[12:13], v[10:11], v[2:3] neg_lo:[0,0,1] neg_hi:[0,0,1]
	v_add_f32_e32 v2, v14, v6
	v_sub_f32_e32 v3, v7, v15
	v_pk_fma_f32 v[6:7], v[0:1], v[4:5], v[10:11] op_sel_hi:[0,1,1] neg_lo:[1,0,0] neg_hi:[1,0,0]
	ds_write_b32 v72, v2
	v_mov_b64_e32 v[0:1], v[44:45]
                                        ; implicit-def: $vgpr4_vgpr5
.LBB0_25:
	s_andn2_saveexec_b64 s[2:3], s[2:3]
	s_cbranch_execz .LBB0_27
; %bb.26:
	s_waitcnt lgkmcnt(0)
	v_mov_b32_e32 v0, v5
	v_pk_add_f32 v[2:3], v[4:5], v[0:1] neg_lo:[0,1] neg_hi:[0,1]
	v_add_f32_e32 v4, v5, v4
	v_mov_b32_e32 v3, 0
	ds_read_b32 v6, v3 offset:9004
	v_mov_b64_e32 v[0:1], 0
	ds_write_b32 v72, v4
	s_waitcnt lgkmcnt(1)
	v_xor_b32_e32 v4, 0x80000000, v6
	v_mov_b64_e32 v[6:7], v[2:3]
	ds_write_b32 v3, v4 offset:9004
.LBB0_27:
	s_or_b64 exec, exec, s[2:3]
	v_mov_b32_e32 v49, 0
	s_waitcnt lgkmcnt(0)
	v_lshl_add_u64 v[4:5], v[48:49], 3, s[4:5]
	global_load_dwordx2 v[10:11], v[4:5], off
	v_mov_b32_e32 v51, v49
	v_lshl_add_u64 v[4:5], v[50:51], 3, s[4:5]
	global_load_dwordx2 v[12:13], v[4:5], off
	v_lshl_add_u64 v[4:5], v[0:1], 3, s[4:5]
	global_load_dwordx2 v[14:15], v[4:5], off offset:2160
	v_mov_b32_e32 v39, v49
	ds_write_b32 v72, v3 offset:4
	ds_write_b64 v8, v[6:7] offset:18000
	v_lshl_add_u64 v[16:17], v[38:39], 3, s[4:5]
	global_load_dwordx2 v[16:17], v[16:17], off
	v_mov_b32_e32 v37, v49
	v_lshl_add_u64 v[28:29], v[36:37], 3, s[4:5]
	global_load_dwordx2 v[28:29], v[28:29], off
	ds_read_b64 v[6:7], v33
	ds_read_b64 v[18:19], v8 offset:17280
	v_mov_b32_e32 v3, 0.5
	v_mov_b32_e32 v20, v3
	v_mov_b32_e32 v35, v49
	;; [unrolled: 1-line block ×3, first 2 shown]
	s_waitcnt lgkmcnt(0)
	v_pk_add_f32 v[30:31], v[6:7], v[18:19]
	v_pk_add_f32 v[6:7], v[6:7], v[18:19] neg_lo:[0,1] neg_hi:[0,1]
	v_mov_b32_e32 v18, v31
	v_mov_b32_e32 v19, v6
	v_pk_mul_f32 v[18:19], v[18:19], 0.5 op_sel_hi:[1,0]
	v_mov_b32_e32 v24, v3
	v_mov_b32_e32 v6, v19
	;; [unrolled: 1-line block ×4, first 2 shown]
	s_movk_i32 s2, 0x1000
	s_waitcnt vmcnt(4)
	v_mov_b32_e32 v2, v11
	v_mov_b32_e32 v21, v11
	v_pk_mul_f32 v[6:7], v[2:3], v[6:7]
	s_waitcnt vmcnt(3)
	v_mov_b32_e32 v2, v13
	v_pk_fma_f32 v[36:37], v[30:31], v[20:21], v[6:7]
	v_pk_fma_f32 v[6:7], v[30:31], v[20:21], v[6:7] neg_lo:[0,0,1] neg_hi:[0,0,1]
	v_pk_fma_f32 v[20:21], v[10:11], v[18:19], v[36:37]
	v_pk_fma_f32 v[30:31], v[10:11], v[18:19], v[36:37] op_sel_hi:[0,1,1] neg_lo:[1,0,0] neg_hi:[1,0,0]
	v_mov_b32_e32 v21, v31
	v_pk_fma_f32 v[6:7], v[10:11], v[18:19], v[6:7] op_sel_hi:[0,1,1] neg_lo:[1,0,0] neg_hi:[1,0,0]
	ds_write_b64 v33, v[20:21]
	ds_write_b64 v8, v[6:7] offset:17280
	v_lshl_add_u64 v[18:19], v[34:35], 3, s[4:5]
	ds_read_b64 v[6:7], v77
	ds_read_b64 v[10:11], v8 offset:16560
	global_load_dwordx2 v[18:19], v[18:19], off
	v_mov_b32_e32 v23, v13
	v_mov_b32_e32 v33, v49
	s_waitcnt vmcnt(3)
	v_mov_b32_e32 v25, v15
	s_waitcnt lgkmcnt(0)
	v_pk_add_f32 v[20:21], v[6:7], v[10:11]
	v_pk_add_f32 v[6:7], v[6:7], v[10:11] neg_lo:[0,1] neg_hi:[0,1]
	v_mov_b32_e32 v10, v21
	v_mov_b32_e32 v11, v6
	v_pk_mul_f32 v[10:11], v[10:11], 0.5 op_sel_hi:[1,0]
	s_waitcnt vmcnt(2)
	v_mov_b32_e32 v27, v17
	v_mov_b32_e32 v6, v11
	;; [unrolled: 1-line block ×3, first 2 shown]
	v_pk_mul_f32 v[6:7], v[2:3], v[6:7]
	v_mov_b32_e32 v2, v15
	v_pk_fma_f32 v[30:31], v[20:21], v[22:23], v[6:7]
	v_pk_fma_f32 v[6:7], v[20:21], v[22:23], v[6:7] neg_lo:[0,0,1] neg_hi:[0,0,1]
	v_pk_fma_f32 v[20:21], v[12:13], v[10:11], v[30:31]
	v_pk_fma_f32 v[22:23], v[12:13], v[10:11], v[30:31] op_sel_hi:[0,1,1] neg_lo:[1,0,0] neg_hi:[1,0,0]
	v_mov_b32_e32 v21, v23
	v_pk_fma_f32 v[6:7], v[12:13], v[10:11], v[6:7] op_sel_hi:[0,1,1] neg_lo:[1,0,0] neg_hi:[1,0,0]
	ds_write_b64 v77, v[20:21]
	ds_write_b64 v8, v[6:7] offset:16560
	v_lshl_add_u64 v[12:13], v[32:33], 3, s[4:5]
	ds_read_b64 v[6:7], v78 offset:2160
	ds_read_b64 v[10:11], v8 offset:15840
	global_load_dwordx2 v[12:13], v[12:13], off
	s_waitcnt lgkmcnt(0)
	v_pk_add_f32 v[20:21], v[6:7], v[10:11]
	v_pk_add_f32 v[6:7], v[6:7], v[10:11] neg_lo:[0,1] neg_hi:[0,1]
	v_mov_b32_e32 v10, v21
	v_mov_b32_e32 v11, v6
	v_pk_mul_f32 v[10:11], v[10:11], 0.5 op_sel_hi:[1,0]
	s_nop 0
	v_mov_b32_e32 v6, v11
	v_mov_b32_e32 v21, v10
	v_pk_mul_f32 v[6:7], v[2:3], v[6:7]
	v_mov_b32_e32 v2, v17
	v_pk_fma_f32 v[22:23], v[20:21], v[24:25], v[6:7]
	v_pk_fma_f32 v[6:7], v[20:21], v[24:25], v[6:7] neg_lo:[0,0,1] neg_hi:[0,0,1]
	v_pk_fma_f32 v[20:21], v[14:15], v[10:11], v[22:23]
	v_pk_fma_f32 v[22:23], v[14:15], v[10:11], v[22:23] op_sel_hi:[0,1,1] neg_lo:[1,0,0] neg_hi:[1,0,0]
	v_mov_b32_e32 v21, v23
	v_pk_fma_f32 v[6:7], v[14:15], v[10:11], v[6:7] op_sel_hi:[0,1,1] neg_lo:[1,0,0] neg_hi:[1,0,0]
	ds_write_b64 v78, v[20:21] offset:2160
	ds_write_b64 v8, v[6:7] offset:15840
	ds_read_b64 v[6:7], v76
	ds_read_b64 v[10:11], v8 offset:15120
	v_add_co_u32_e64 v14, s[2:3], s2, v4
	s_waitcnt lgkmcnt(0)
	v_pk_add_f32 v[22:23], v[6:7], v[10:11]
	v_pk_add_f32 v[6:7], v[6:7], v[10:11] neg_lo:[0,1] neg_hi:[0,1]
	v_mov_b32_e32 v10, v23
	v_mov_b32_e32 v11, v6
	v_pk_mul_f32 v[10:11], v[10:11], 0.5 op_sel_hi:[1,0]
	v_addc_co_u32_e64 v15, s[2:3], 0, v5, s[2:3]
	v_mov_b32_e32 v6, v11
	v_mov_b32_e32 v23, v10
	v_pk_mul_f32 v[6:7], v[2:3], v[6:7]
	global_load_dwordx2 v[20:21], v[14:15], off offset:1664
	v_pk_fma_f32 v[24:25], v[22:23], v[26:27], v[6:7]
	v_pk_fma_f32 v[6:7], v[22:23], v[26:27], v[6:7] neg_lo:[0,0,1] neg_hi:[0,0,1]
	v_pk_fma_f32 v[22:23], v[16:17], v[10:11], v[24:25]
	v_pk_fma_f32 v[24:25], v[16:17], v[10:11], v[24:25] op_sel_hi:[0,1,1] neg_lo:[1,0,0] neg_hi:[1,0,0]
	v_mov_b32_e32 v23, v25
	v_pk_fma_f32 v[6:7], v[16:17], v[10:11], v[6:7] op_sel_hi:[0,1,1] neg_lo:[1,0,0] neg_hi:[1,0,0]
	ds_write_b64 v76, v[22:23]
	ds_write_b64 v8, v[6:7] offset:15120
	ds_read_b64 v[6:7], v75
	ds_read_b64 v[10:11], v8 offset:14400
	s_waitcnt vmcnt(3)
	v_mov_b32_e32 v2, v29
	v_mov_b32_e32 v16, v3
	;; [unrolled: 1-line block ×3, first 2 shown]
	s_waitcnt lgkmcnt(0)
	v_pk_add_f32 v[22:23], v[6:7], v[10:11]
	v_pk_add_f32 v[6:7], v[6:7], v[10:11] neg_lo:[0,1] neg_hi:[0,1]
	v_mov_b32_e32 v10, v23
	v_mov_b32_e32 v11, v6
	v_pk_mul_f32 v[10:11], v[10:11], 0.5 op_sel_hi:[1,0]
	s_nop 0
	v_mov_b32_e32 v6, v11
	v_mov_b32_e32 v23, v10
	v_pk_mul_f32 v[6:7], v[2:3], v[6:7]
	s_waitcnt vmcnt(2)
	v_mov_b32_e32 v2, v19
	v_pk_fma_f32 v[24:25], v[22:23], v[16:17], v[6:7]
	v_pk_fma_f32 v[6:7], v[22:23], v[16:17], v[6:7] neg_lo:[0,0,1] neg_hi:[0,0,1]
	v_pk_fma_f32 v[16:17], v[28:29], v[10:11], v[24:25]
	v_pk_fma_f32 v[22:23], v[28:29], v[10:11], v[24:25] op_sel_hi:[0,1,1] neg_lo:[1,0,0] neg_hi:[1,0,0]
	v_mov_b32_e32 v17, v23
	v_pk_fma_f32 v[6:7], v[28:29], v[10:11], v[6:7] op_sel_hi:[0,1,1] neg_lo:[1,0,0] neg_hi:[1,0,0]
	ds_write_b64 v75, v[16:17]
	ds_write_b64 v8, v[6:7] offset:14400
	ds_read_b64 v[6:7], v74
	ds_read_b64 v[10:11], v8 offset:13680
	global_load_dwordx2 v[22:23], v[14:15], off offset:2384
	v_mov_b32_e32 v16, v3
	v_mov_b32_e32 v17, v19
	s_waitcnt lgkmcnt(0)
	v_pk_add_f32 v[24:25], v[6:7], v[10:11]
	v_pk_add_f32 v[6:7], v[6:7], v[10:11] neg_lo:[0,1] neg_hi:[0,1]
	v_mov_b32_e32 v10, v25
	v_mov_b32_e32 v11, v6
	v_pk_mul_f32 v[10:11], v[10:11], 0.5 op_sel_hi:[1,0]
	s_nop 0
	v_mov_b32_e32 v6, v11
	v_mov_b32_e32 v25, v10
	v_pk_mul_f32 v[6:7], v[2:3], v[6:7]
	s_waitcnt vmcnt(2)
	v_mov_b32_e32 v2, v13
	v_pk_fma_f32 v[26:27], v[24:25], v[16:17], v[6:7]
	v_pk_fma_f32 v[6:7], v[24:25], v[16:17], v[6:7] neg_lo:[0,0,1] neg_hi:[0,0,1]
	v_pk_fma_f32 v[16:17], v[18:19], v[10:11], v[26:27]
	v_pk_fma_f32 v[24:25], v[18:19], v[10:11], v[26:27] op_sel_hi:[0,1,1] neg_lo:[1,0,0] neg_hi:[1,0,0]
	v_mov_b32_e32 v17, v25
	v_pk_fma_f32 v[6:7], v[18:19], v[10:11], v[6:7] op_sel_hi:[0,1,1] neg_lo:[1,0,0] neg_hi:[1,0,0]
	ds_write_b64 v74, v[16:17]
	ds_write_b64 v8, v[6:7] offset:13680
	ds_read_b64 v[6:7], v73
	ds_read_b64 v[10:11], v8 offset:12960
	global_load_dwordx2 v[18:19], v[14:15], off offset:3104
	v_mov_b32_e32 v24, v3
	v_mov_b32_e32 v25, v13
	s_waitcnt lgkmcnt(0)
	v_pk_add_f32 v[16:17], v[6:7], v[10:11]
	v_pk_add_f32 v[6:7], v[6:7], v[10:11] neg_lo:[0,1] neg_hi:[0,1]
	v_mov_b32_e32 v10, v17
	v_mov_b32_e32 v11, v6
	v_pk_mul_f32 v[10:11], v[10:11], 0.5 op_sel_hi:[1,0]
	s_nop 0
	v_mov_b32_e32 v6, v11
	v_mov_b32_e32 v17, v10
	v_pk_mul_f32 v[6:7], v[2:3], v[6:7]
	s_waitcnt vmcnt(2)
	v_mov_b32_e32 v2, v21
	v_pk_fma_f32 v[26:27], v[16:17], v[24:25], v[6:7]
	v_pk_fma_f32 v[6:7], v[16:17], v[24:25], v[6:7] neg_lo:[0,0,1] neg_hi:[0,0,1]
	v_pk_fma_f32 v[28:29], v[12:13], v[10:11], v[26:27]
	v_pk_fma_f32 v[26:27], v[12:13], v[10:11], v[26:27] op_sel_hi:[0,1,1] neg_lo:[1,0,0] neg_hi:[1,0,0]
	v_mov_b32_e32 v29, v27
	v_pk_fma_f32 v[6:7], v[12:13], v[10:11], v[6:7] op_sel_hi:[0,1,1] neg_lo:[1,0,0] neg_hi:[1,0,0]
	ds_write_b64 v73, v[28:29]
	ds_write_b64 v8, v[6:7] offset:12960
	ds_read_b64 v[6:7], v72 offset:5760
	ds_read_b64 v[10:11], v8 offset:12240
	global_load_dwordx2 v[14:15], v[14:15], off offset:3824
	v_mov_b32_e32 v16, v3
	v_mov_b32_e32 v17, v21
	s_waitcnt lgkmcnt(0)
	v_pk_add_f32 v[12:13], v[6:7], v[10:11]
	v_pk_add_f32 v[6:7], v[6:7], v[10:11] neg_lo:[0,1] neg_hi:[0,1]
	v_mov_b32_e32 v10, v13
	v_mov_b32_e32 v11, v6
	v_pk_mul_f32 v[10:11], v[10:11], 0.5 op_sel_hi:[1,0]
	s_nop 0
	v_mov_b32_e32 v6, v11
	v_pk_mul_f32 v[6:7], v[2:3], v[6:7]
	v_mov_b32_e32 v13, v10
	v_pk_fma_f32 v[24:25], v[12:13], v[16:17], v[6:7]
	v_pk_fma_f32 v[6:7], v[12:13], v[16:17], v[6:7] neg_lo:[0,0,1] neg_hi:[0,0,1]
	v_pk_fma_f32 v[26:27], v[20:21], v[10:11], v[24:25]
	v_pk_fma_f32 v[24:25], v[20:21], v[10:11], v[24:25] op_sel_hi:[0,1,1] neg_lo:[1,0,0] neg_hi:[1,0,0]
	v_mov_b32_e32 v27, v25
	v_pk_fma_f32 v[6:7], v[20:21], v[10:11], v[6:7] op_sel_hi:[0,1,1] neg_lo:[1,0,0] neg_hi:[1,0,0]
	ds_write_b64 v72, v[26:27] offset:5760
	ds_write_b64 v8, v[6:7] offset:12240
	ds_read_b64 v[6:7], v72 offset:6480
	ds_read_b64 v[10:11], v8 offset:11520
	s_waitcnt vmcnt(2)
	v_mov_b32_e32 v2, v23
	v_mov_b32_e32 v17, v23
	s_waitcnt lgkmcnt(0)
	v_pk_add_f32 v[12:13], v[6:7], v[10:11]
	v_pk_add_f32 v[6:7], v[6:7], v[10:11] neg_lo:[0,1] neg_hi:[0,1]
	v_mov_b32_e32 v10, v13
	v_mov_b32_e32 v11, v6
	v_pk_mul_f32 v[10:11], v[10:11], 0.5 op_sel_hi:[1,0]
	s_nop 0
	v_mov_b32_e32 v6, v11
	v_pk_mul_f32 v[6:7], v[2:3], v[6:7]
	v_mov_b32_e32 v13, v10
	v_pk_fma_f32 v[20:21], v[12:13], v[16:17], v[6:7]
	v_pk_fma_f32 v[6:7], v[12:13], v[16:17], v[6:7] neg_lo:[0,0,1] neg_hi:[0,0,1]
	v_pk_fma_f32 v[24:25], v[22:23], v[10:11], v[20:21]
	v_pk_fma_f32 v[20:21], v[22:23], v[10:11], v[20:21] op_sel_hi:[0,1,1] neg_lo:[1,0,0] neg_hi:[1,0,0]
	v_mov_b32_e32 v25, v21
	v_pk_fma_f32 v[6:7], v[22:23], v[10:11], v[6:7] op_sel_hi:[0,1,1] neg_lo:[1,0,0] neg_hi:[1,0,0]
	ds_write_b64 v72, v[24:25] offset:6480
	ds_write_b64 v8, v[6:7] offset:11520
	ds_read_b64 v[6:7], v72 offset:7200
	ds_read_b64 v[10:11], v8 offset:10800
	s_waitcnt vmcnt(1)
	v_mov_b32_e32 v2, v19
	v_mov_b32_e32 v17, v19
	s_waitcnt lgkmcnt(0)
	v_pk_add_f32 v[12:13], v[6:7], v[10:11]
	v_pk_add_f32 v[6:7], v[6:7], v[10:11] neg_lo:[0,1] neg_hi:[0,1]
	v_mov_b32_e32 v10, v13
	v_mov_b32_e32 v11, v6
	v_pk_mul_f32 v[10:11], v[10:11], 0.5 op_sel_hi:[1,0]
	s_nop 0
	v_mov_b32_e32 v6, v11
	v_pk_mul_f32 v[6:7], v[2:3], v[6:7]
	v_mov_b32_e32 v13, v10
	v_pk_fma_f32 v[20:21], v[12:13], v[16:17], v[6:7]
	v_pk_fma_f32 v[6:7], v[12:13], v[16:17], v[6:7] neg_lo:[0,0,1] neg_hi:[0,0,1]
	v_pk_fma_f32 v[22:23], v[18:19], v[10:11], v[20:21]
	v_pk_fma_f32 v[20:21], v[18:19], v[10:11], v[20:21] op_sel_hi:[0,1,1] neg_lo:[1,0,0] neg_hi:[1,0,0]
	v_mov_b32_e32 v23, v21
	v_pk_fma_f32 v[6:7], v[18:19], v[10:11], v[6:7] op_sel_hi:[0,1,1] neg_lo:[1,0,0] neg_hi:[1,0,0]
	ds_write_b64 v72, v[22:23] offset:7200
	ds_write_b64 v8, v[6:7] offset:10800
	ds_read_b64 v[6:7], v72 offset:7920
	ds_read_b64 v[10:11], v8 offset:10080
	s_waitcnt lgkmcnt(0)
	v_pk_add_f32 v[12:13], v[6:7], v[10:11]
	v_pk_add_f32 v[6:7], v[6:7], v[10:11] neg_lo:[0,1] neg_hi:[0,1]
	v_mov_b32_e32 v10, v13
	v_mov_b32_e32 v11, v6
	v_pk_mul_f32 v[10:11], v[10:11], 0.5 op_sel_hi:[1,0]
	s_waitcnt vmcnt(0)
	v_mov_b32_e32 v2, v15
	v_mov_b32_e32 v6, v11
	v_pk_mul_f32 v[6:7], v[2:3], v[6:7]
	v_mov_b32_e32 v13, v10
	v_mov_b32_e32 v17, v15
	v_pk_fma_f32 v[18:19], v[12:13], v[16:17], v[6:7]
	v_pk_fma_f32 v[6:7], v[12:13], v[16:17], v[6:7] neg_lo:[0,0,1] neg_hi:[0,0,1]
	v_pk_fma_f32 v[20:21], v[14:15], v[10:11], v[18:19]
	v_pk_fma_f32 v[18:19], v[14:15], v[10:11], v[18:19] op_sel_hi:[0,1,1] neg_lo:[1,0,0] neg_hi:[1,0,0]
	v_mov_b32_e32 v21, v19
	v_pk_fma_f32 v[6:7], v[14:15], v[10:11], v[6:7] op_sel_hi:[0,1,1] neg_lo:[1,0,0] neg_hi:[1,0,0]
	ds_write_b64 v72, v[20:21] offset:7920
	ds_write_b64 v8, v[6:7] offset:10080
	s_and_saveexec_b64 s[2:3], vcc
	s_cbranch_execz .LBB0_29
; %bb.28:
	v_add_co_u32_e32 v4, vcc, 0x2000, v4
	v_mov_b32_e32 v12, v3
	s_nop 0
	v_addc_co_u32_e32 v5, vcc, 0, v5, vcc
	global_load_dwordx2 v[4:5], v[4:5], off offset:448
	ds_read_b64 v[6:7], v72 offset:8640
	ds_read_b64 v[10:11], v8 offset:9360
	s_waitcnt lgkmcnt(0)
	v_pk_add_f32 v[14:15], v[6:7], v[10:11]
	v_pk_add_f32 v[6:7], v[6:7], v[10:11] neg_lo:[0,1] neg_hi:[0,1]
	v_mov_b32_e32 v10, v15
	v_mov_b32_e32 v11, v6
	v_pk_mul_f32 v[10:11], v[10:11], 0.5 op_sel_hi:[1,0]
	s_waitcnt vmcnt(0)
	v_mov_b32_e32 v2, v5
	v_mov_b32_e32 v6, v11
	;; [unrolled: 1-line block ×4, first 2 shown]
	v_pk_mul_f32 v[2:3], v[2:3], v[6:7]
	s_nop 0
	v_pk_fma_f32 v[6:7], v[14:15], v[12:13], v[2:3]
	v_pk_fma_f32 v[2:3], v[14:15], v[12:13], v[2:3] neg_lo:[0,0,1] neg_hi:[0,0,1]
	v_pk_fma_f32 v[12:13], v[4:5], v[10:11], v[6:7]
	v_pk_fma_f32 v[6:7], v[4:5], v[10:11], v[6:7] op_sel_hi:[0,1,1] neg_lo:[1,0,0] neg_hi:[1,0,0]
	v_mov_b32_e32 v13, v7
	v_pk_fma_f32 v[2:3], v[4:5], v[10:11], v[2:3] op_sel_hi:[0,1,1] neg_lo:[1,0,0] neg_hi:[1,0,0]
	ds_write_b64 v72, v[12:13] offset:8640
	ds_write_b64 v8, v[2:3] offset:9360
.LBB0_29:
	s_or_b64 exec, exec, s[2:3]
	s_waitcnt lgkmcnt(0)
	s_barrier
	s_and_saveexec_b64 s[2:3], s[0:1]
	s_cbranch_execz .LBB0_32
; %bb.30:
	v_lshl_add_u64 v[12:13], v[0:1], 3, v[46:47]
	ds_read2_b64 v[0:3], v72 offset1:90
	v_add_u32_e32 v4, 0x400, v72
	ds_read2_b64 v[4:7], v4 offset0:52 offset1:142
	v_add_u32_e32 v8, 0x800, v72
	ds_read2_b64 v[8:11], v8 offset0:104 offset1:194
	s_waitcnt lgkmcnt(2)
	global_store_dwordx2 v[12:13], v[0:1], off
	global_store_dwordx2 v[12:13], v[2:3], off offset:720
	s_waitcnt lgkmcnt(1)
	global_store_dwordx2 v[12:13], v[4:5], off offset:1440
	global_store_dwordx2 v[12:13], v[6:7], off offset:2160
	s_waitcnt lgkmcnt(0)
	global_store_dwordx2 v[12:13], v[8:9], off offset:2880
	global_store_dwordx2 v[12:13], v[10:11], off offset:3600
	v_add_u32_e32 v0, 0x1000, v72
	ds_read2_b64 v[0:3], v0 offset0:28 offset1:118
	v_add_u32_e32 v4, 0x1400, v72
	ds_read2_b64 v[4:7], v4 offset0:80 offset1:170
	v_add_co_u32_e32 v14, vcc, 0x1000, v12
	v_add_u32_e32 v8, 0x1800, v72
	s_nop 0
	v_addc_co_u32_e32 v15, vcc, 0, v13, vcc
	ds_read2_b64 v[8:11], v8 offset0:132 offset1:222
	s_waitcnt lgkmcnt(2)
	global_store_dwordx2 v[14:15], v[0:1], off offset:224
	global_store_dwordx2 v[14:15], v[2:3], off offset:944
	s_waitcnt lgkmcnt(1)
	global_store_dwordx2 v[14:15], v[4:5], off offset:1664
	global_store_dwordx2 v[14:15], v[6:7], off offset:2384
	;; [unrolled: 3-line block ×3, first 2 shown]
	v_add_u32_e32 v0, 0x2000, v72
	ds_read2_b64 v[0:3], v0 offset0:56 offset1:146
	v_add_u32_e32 v4, 0x2400, v72
	s_movk_i32 s0, 0x2000
	ds_read2_b64 v[4:7], v4 offset0:108 offset1:198
	v_add_co_u32_e32 v14, vcc, s0, v12
	v_add_u32_e32 v8, 0x2800, v72
	s_nop 0
	v_addc_co_u32_e32 v15, vcc, 0, v13, vcc
	ds_read2_b64 v[8:11], v8 offset0:160 offset1:250
	s_waitcnt lgkmcnt(2)
	global_store_dwordx2 v[14:15], v[0:1], off offset:448
	global_store_dwordx2 v[14:15], v[2:3], off offset:1168
	s_waitcnt lgkmcnt(1)
	global_store_dwordx2 v[14:15], v[4:5], off offset:1888
	global_store_dwordx2 v[14:15], v[6:7], off offset:2608
	;; [unrolled: 3-line block ×3, first 2 shown]
	v_add_u32_e32 v0, 0x3000, v72
	ds_read2_b64 v[0:3], v0 offset0:84 offset1:174
	v_add_u32_e32 v4, 0x3800, v72
	s_movk_i32 s0, 0x3000
	ds_read2_b64 v[4:7], v4 offset0:8 offset1:98
	v_add_co_u32_e32 v14, vcc, s0, v12
	v_add_u32_e32 v8, 0x3c00, v72
	s_nop 0
	v_addc_co_u32_e32 v15, vcc, 0, v13, vcc
	ds_read2_b64 v[8:11], v8 offset0:60 offset1:150
	s_waitcnt lgkmcnt(2)
	global_store_dwordx2 v[14:15], v[0:1], off offset:672
	global_store_dwordx2 v[14:15], v[2:3], off offset:1392
	s_waitcnt lgkmcnt(1)
	global_store_dwordx2 v[14:15], v[4:5], off offset:2112
	global_store_dwordx2 v[14:15], v[6:7], off offset:2832
	s_waitcnt lgkmcnt(0)
	global_store_dwordx2 v[14:15], v[8:9], off offset:3552
	ds_read_b64 v[2:3], v72 offset:17280
	v_add_co_u32_e32 v0, vcc, 0x4000, v12
	s_movk_i32 s0, 0x59
	s_nop 0
	v_addc_co_u32_e32 v1, vcc, 0, v13, vcc
	v_cmp_eq_u32_e32 vcc, s0, v44
	global_store_dwordx2 v[0:1], v[10:11], off offset:176
	s_waitcnt lgkmcnt(0)
	global_store_dwordx2 v[0:1], v[2:3], off offset:896
	s_and_b64 exec, exec, vcc
	s_cbranch_execz .LBB0_32
; %bb.31:
	v_mov_b32_e32 v0, 0
	ds_read_b64 v[0:1], v0 offset:18000
	v_add_co_u32_e32 v2, vcc, 0x4000, v46
	s_nop 1
	v_addc_co_u32_e32 v3, vcc, 0, v47, vcc
	s_waitcnt lgkmcnt(0)
	global_store_dwordx2 v[2:3], v[0:1], off offset:1616
.LBB0_32:
	s_endpgm
	.section	.rodata,"a",@progbits
	.p2align	6, 0x0
	.amdhsa_kernel fft_rtc_back_len2250_factors_10_3_5_3_5_wgs_90_tpt_90_halfLds_sp_ip_CI_unitstride_sbrr_R2C_dirReg
		.amdhsa_group_segment_fixed_size 0
		.amdhsa_private_segment_fixed_size 0
		.amdhsa_kernarg_size 88
		.amdhsa_user_sgpr_count 2
		.amdhsa_user_sgpr_dispatch_ptr 0
		.amdhsa_user_sgpr_queue_ptr 0
		.amdhsa_user_sgpr_kernarg_segment_ptr 1
		.amdhsa_user_sgpr_dispatch_id 0
		.amdhsa_user_sgpr_kernarg_preload_length 0
		.amdhsa_user_sgpr_kernarg_preload_offset 0
		.amdhsa_user_sgpr_private_segment_size 0
		.amdhsa_uses_dynamic_stack 0
		.amdhsa_enable_private_segment 0
		.amdhsa_system_sgpr_workgroup_id_x 1
		.amdhsa_system_sgpr_workgroup_id_y 0
		.amdhsa_system_sgpr_workgroup_id_z 0
		.amdhsa_system_sgpr_workgroup_info 0
		.amdhsa_system_vgpr_workitem_id 0
		.amdhsa_next_free_vgpr 137
		.amdhsa_next_free_sgpr 22
		.amdhsa_accum_offset 140
		.amdhsa_reserve_vcc 1
		.amdhsa_float_round_mode_32 0
		.amdhsa_float_round_mode_16_64 0
		.amdhsa_float_denorm_mode_32 3
		.amdhsa_float_denorm_mode_16_64 3
		.amdhsa_dx10_clamp 1
		.amdhsa_ieee_mode 1
		.amdhsa_fp16_overflow 0
		.amdhsa_tg_split 0
		.amdhsa_exception_fp_ieee_invalid_op 0
		.amdhsa_exception_fp_denorm_src 0
		.amdhsa_exception_fp_ieee_div_zero 0
		.amdhsa_exception_fp_ieee_overflow 0
		.amdhsa_exception_fp_ieee_underflow 0
		.amdhsa_exception_fp_ieee_inexact 0
		.amdhsa_exception_int_div_zero 0
	.end_amdhsa_kernel
	.text
.Lfunc_end0:
	.size	fft_rtc_back_len2250_factors_10_3_5_3_5_wgs_90_tpt_90_halfLds_sp_ip_CI_unitstride_sbrr_R2C_dirReg, .Lfunc_end0-fft_rtc_back_len2250_factors_10_3_5_3_5_wgs_90_tpt_90_halfLds_sp_ip_CI_unitstride_sbrr_R2C_dirReg
                                        ; -- End function
	.section	.AMDGPU.csdata,"",@progbits
; Kernel info:
; codeLenInByte = 17452
; NumSgprs: 28
; NumVgprs: 137
; NumAgprs: 0
; TotalNumVgprs: 137
; ScratchSize: 0
; MemoryBound: 0
; FloatMode: 240
; IeeeMode: 1
; LDSByteSize: 0 bytes/workgroup (compile time only)
; SGPRBlocks: 3
; VGPRBlocks: 17
; NumSGPRsForWavesPerEU: 28
; NumVGPRsForWavesPerEU: 137
; AccumOffset: 140
; Occupancy: 3
; WaveLimiterHint : 1
; COMPUTE_PGM_RSRC2:SCRATCH_EN: 0
; COMPUTE_PGM_RSRC2:USER_SGPR: 2
; COMPUTE_PGM_RSRC2:TRAP_HANDLER: 0
; COMPUTE_PGM_RSRC2:TGID_X_EN: 1
; COMPUTE_PGM_RSRC2:TGID_Y_EN: 0
; COMPUTE_PGM_RSRC2:TGID_Z_EN: 0
; COMPUTE_PGM_RSRC2:TIDIG_COMP_CNT: 0
; COMPUTE_PGM_RSRC3_GFX90A:ACCUM_OFFSET: 34
; COMPUTE_PGM_RSRC3_GFX90A:TG_SPLIT: 0
	.text
	.p2alignl 6, 3212836864
	.fill 256, 4, 3212836864
	.type	__hip_cuid_a12d49f6f871d79a,@object ; @__hip_cuid_a12d49f6f871d79a
	.section	.bss,"aw",@nobits
	.globl	__hip_cuid_a12d49f6f871d79a
__hip_cuid_a12d49f6f871d79a:
	.byte	0                               ; 0x0
	.size	__hip_cuid_a12d49f6f871d79a, 1

	.ident	"AMD clang version 19.0.0git (https://github.com/RadeonOpenCompute/llvm-project roc-6.4.0 25133 c7fe45cf4b819c5991fe208aaa96edf142730f1d)"
	.section	".note.GNU-stack","",@progbits
	.addrsig
	.addrsig_sym __hip_cuid_a12d49f6f871d79a
	.amdgpu_metadata
---
amdhsa.kernels:
  - .agpr_count:     0
    .args:
      - .actual_access:  read_only
        .address_space:  global
        .offset:         0
        .size:           8
        .value_kind:     global_buffer
      - .offset:         8
        .size:           8
        .value_kind:     by_value
      - .actual_access:  read_only
        .address_space:  global
        .offset:         16
        .size:           8
        .value_kind:     global_buffer
      - .actual_access:  read_only
        .address_space:  global
        .offset:         24
        .size:           8
        .value_kind:     global_buffer
      - .offset:         32
        .size:           8
        .value_kind:     by_value
      - .actual_access:  read_only
        .address_space:  global
        .offset:         40
        .size:           8
        .value_kind:     global_buffer
      - .actual_access:  read_only
        .address_space:  global
        .offset:         48
        .size:           8
        .value_kind:     global_buffer
      - .offset:         56
        .size:           4
        .value_kind:     by_value
      - .actual_access:  read_only
        .address_space:  global
        .offset:         64
        .size:           8
        .value_kind:     global_buffer
      - .actual_access:  read_only
        .address_space:  global
        .offset:         72
        .size:           8
        .value_kind:     global_buffer
      - .address_space:  global
        .offset:         80
        .size:           8
        .value_kind:     global_buffer
    .group_segment_fixed_size: 0
    .kernarg_segment_align: 8
    .kernarg_segment_size: 88
    .language:       OpenCL C
    .language_version:
      - 2
      - 0
    .max_flat_workgroup_size: 90
    .name:           fft_rtc_back_len2250_factors_10_3_5_3_5_wgs_90_tpt_90_halfLds_sp_ip_CI_unitstride_sbrr_R2C_dirReg
    .private_segment_fixed_size: 0
    .sgpr_count:     28
    .sgpr_spill_count: 0
    .symbol:         fft_rtc_back_len2250_factors_10_3_5_3_5_wgs_90_tpt_90_halfLds_sp_ip_CI_unitstride_sbrr_R2C_dirReg.kd
    .uniform_work_group_size: 1
    .uses_dynamic_stack: false
    .vgpr_count:     137
    .vgpr_spill_count: 0
    .wavefront_size: 64
amdhsa.target:   amdgcn-amd-amdhsa--gfx950
amdhsa.version:
  - 1
  - 2
...

	.end_amdgpu_metadata
